;; amdgpu-corpus repo=ROCm/rocFFT kind=compiled arch=gfx1030 opt=O3
	.text
	.amdgcn_target "amdgcn-amd-amdhsa--gfx1030"
	.amdhsa_code_object_version 6
	.protected	fft_rtc_back_len1904_factors_17_2_2_7_4_wgs_119_tpt_119_halfLds_half_op_CI_CI_unitstride_sbrr_R2C_dirReg ; -- Begin function fft_rtc_back_len1904_factors_17_2_2_7_4_wgs_119_tpt_119_halfLds_half_op_CI_CI_unitstride_sbrr_R2C_dirReg
	.globl	fft_rtc_back_len1904_factors_17_2_2_7_4_wgs_119_tpt_119_halfLds_half_op_CI_CI_unitstride_sbrr_R2C_dirReg
	.p2align	8
	.type	fft_rtc_back_len1904_factors_17_2_2_7_4_wgs_119_tpt_119_halfLds_half_op_CI_CI_unitstride_sbrr_R2C_dirReg,@function
fft_rtc_back_len1904_factors_17_2_2_7_4_wgs_119_tpt_119_halfLds_half_op_CI_CI_unitstride_sbrr_R2C_dirReg: ; @fft_rtc_back_len1904_factors_17_2_2_7_4_wgs_119_tpt_119_halfLds_half_op_CI_CI_unitstride_sbrr_R2C_dirReg
; %bb.0:
	s_clause 0x2
	s_load_dwordx4 s[12:15], s[4:5], 0x0
	s_load_dwordx4 s[8:11], s[4:5], 0x58
	;; [unrolled: 1-line block ×3, first 2 shown]
	v_mul_u32_u24_e32 v1, 0x227, v0
	v_mov_b32_e32 v3, 0
	v_mov_b32_e32 v7, 0
	;; [unrolled: 1-line block ×3, first 2 shown]
	v_add_nc_u32_sdwa v9, s6, v1 dst_sel:DWORD dst_unused:UNUSED_PAD src0_sel:DWORD src1_sel:WORD_1
	v_mov_b32_e32 v10, v3
	s_waitcnt lgkmcnt(0)
	v_cmp_lt_u64_e64 s0, s[14:15], 2
	s_and_b32 vcc_lo, exec_lo, s0
	s_cbranch_vccnz .LBB0_8
; %bb.1:
	s_load_dwordx2 s[0:1], s[4:5], 0x10
	v_mov_b32_e32 v7, 0
	v_mov_b32_e32 v8, 0
	s_add_u32 s2, s18, 8
	s_addc_u32 s3, s19, 0
	v_mov_b32_e32 v1, v7
	s_add_u32 s6, s16, 8
	v_mov_b32_e32 v2, v8
	s_addc_u32 s7, s17, 0
	s_mov_b64 s[22:23], 1
	s_waitcnt lgkmcnt(0)
	s_add_u32 s20, s0, 8
	s_addc_u32 s21, s1, 0
.LBB0_2:                                ; =>This Inner Loop Header: Depth=1
	s_load_dwordx2 s[24:25], s[20:21], 0x0
                                        ; implicit-def: $vgpr5_vgpr6
	s_mov_b32 s0, exec_lo
	s_waitcnt lgkmcnt(0)
	v_or_b32_e32 v4, s25, v10
	v_cmpx_ne_u64_e32 0, v[3:4]
	s_xor_b32 s1, exec_lo, s0
	s_cbranch_execz .LBB0_4
; %bb.3:                                ;   in Loop: Header=BB0_2 Depth=1
	v_cvt_f32_u32_e32 v4, s24
	v_cvt_f32_u32_e32 v5, s25
	s_sub_u32 s0, 0, s24
	s_subb_u32 s26, 0, s25
	v_fmac_f32_e32 v4, 0x4f800000, v5
	v_rcp_f32_e32 v4, v4
	v_mul_f32_e32 v4, 0x5f7ffffc, v4
	v_mul_f32_e32 v5, 0x2f800000, v4
	v_trunc_f32_e32 v5, v5
	v_fmac_f32_e32 v4, 0xcf800000, v5
	v_cvt_u32_f32_e32 v5, v5
	v_cvt_u32_f32_e32 v4, v4
	v_mul_lo_u32 v6, s0, v5
	v_mul_hi_u32 v11, s0, v4
	v_mul_lo_u32 v12, s26, v4
	v_add_nc_u32_e32 v6, v11, v6
	v_mul_lo_u32 v11, s0, v4
	v_add_nc_u32_e32 v6, v6, v12
	v_mul_hi_u32 v12, v4, v11
	v_mul_lo_u32 v13, v4, v6
	v_mul_hi_u32 v14, v4, v6
	v_mul_hi_u32 v15, v5, v11
	v_mul_lo_u32 v11, v5, v11
	v_mul_hi_u32 v16, v5, v6
	v_mul_lo_u32 v6, v5, v6
	v_add_co_u32 v12, vcc_lo, v12, v13
	v_add_co_ci_u32_e32 v13, vcc_lo, 0, v14, vcc_lo
	v_add_co_u32 v11, vcc_lo, v12, v11
	v_add_co_ci_u32_e32 v11, vcc_lo, v13, v15, vcc_lo
	v_add_co_ci_u32_e32 v12, vcc_lo, 0, v16, vcc_lo
	v_add_co_u32 v6, vcc_lo, v11, v6
	v_add_co_ci_u32_e32 v11, vcc_lo, 0, v12, vcc_lo
	v_add_co_u32 v4, vcc_lo, v4, v6
	v_add_co_ci_u32_e32 v5, vcc_lo, v5, v11, vcc_lo
	v_mul_hi_u32 v6, s0, v4
	v_mul_lo_u32 v12, s26, v4
	v_mul_lo_u32 v11, s0, v5
	v_add_nc_u32_e32 v6, v6, v11
	v_mul_lo_u32 v11, s0, v4
	v_add_nc_u32_e32 v6, v6, v12
	v_mul_hi_u32 v12, v4, v11
	v_mul_lo_u32 v13, v4, v6
	v_mul_hi_u32 v14, v4, v6
	v_mul_hi_u32 v15, v5, v11
	v_mul_lo_u32 v11, v5, v11
	v_mul_hi_u32 v16, v5, v6
	v_mul_lo_u32 v6, v5, v6
	v_add_co_u32 v12, vcc_lo, v12, v13
	v_add_co_ci_u32_e32 v13, vcc_lo, 0, v14, vcc_lo
	v_add_co_u32 v11, vcc_lo, v12, v11
	v_add_co_ci_u32_e32 v11, vcc_lo, v13, v15, vcc_lo
	v_add_co_ci_u32_e32 v12, vcc_lo, 0, v16, vcc_lo
	v_add_co_u32 v6, vcc_lo, v11, v6
	v_add_co_ci_u32_e32 v11, vcc_lo, 0, v12, vcc_lo
	v_add_co_u32 v6, vcc_lo, v4, v6
	v_add_co_ci_u32_e32 v13, vcc_lo, v5, v11, vcc_lo
	v_mul_hi_u32 v15, v9, v6
	v_mad_u64_u32 v[11:12], null, v10, v6, 0
	v_mad_u64_u32 v[4:5], null, v9, v13, 0
	;; [unrolled: 1-line block ×3, first 2 shown]
	v_add_co_u32 v4, vcc_lo, v15, v4
	v_add_co_ci_u32_e32 v5, vcc_lo, 0, v5, vcc_lo
	v_add_co_u32 v4, vcc_lo, v4, v11
	v_add_co_ci_u32_e32 v4, vcc_lo, v5, v12, vcc_lo
	v_add_co_ci_u32_e32 v5, vcc_lo, 0, v14, vcc_lo
	v_add_co_u32 v11, vcc_lo, v4, v13
	v_add_co_ci_u32_e32 v6, vcc_lo, 0, v5, vcc_lo
	v_mul_lo_u32 v12, s25, v11
	v_mad_u64_u32 v[4:5], null, s24, v11, 0
	v_mul_lo_u32 v13, s24, v6
	v_sub_co_u32 v4, vcc_lo, v9, v4
	v_add3_u32 v5, v5, v13, v12
	v_sub_nc_u32_e32 v12, v10, v5
	v_subrev_co_ci_u32_e64 v12, s0, s25, v12, vcc_lo
	v_add_co_u32 v13, s0, v11, 2
	v_add_co_ci_u32_e64 v14, s0, 0, v6, s0
	v_sub_co_u32 v15, s0, v4, s24
	v_sub_co_ci_u32_e32 v5, vcc_lo, v10, v5, vcc_lo
	v_subrev_co_ci_u32_e64 v12, s0, 0, v12, s0
	v_cmp_le_u32_e32 vcc_lo, s24, v15
	v_cmp_eq_u32_e64 s0, s25, v5
	v_cndmask_b32_e64 v15, 0, -1, vcc_lo
	v_cmp_le_u32_e32 vcc_lo, s25, v12
	v_cndmask_b32_e64 v16, 0, -1, vcc_lo
	v_cmp_le_u32_e32 vcc_lo, s24, v4
	;; [unrolled: 2-line block ×3, first 2 shown]
	v_cndmask_b32_e64 v17, 0, -1, vcc_lo
	v_cmp_eq_u32_e32 vcc_lo, s25, v12
	v_cndmask_b32_e64 v4, v17, v4, s0
	v_cndmask_b32_e32 v12, v16, v15, vcc_lo
	v_add_co_u32 v15, vcc_lo, v11, 1
	v_add_co_ci_u32_e32 v16, vcc_lo, 0, v6, vcc_lo
	v_cmp_ne_u32_e32 vcc_lo, 0, v12
	v_cndmask_b32_e32 v5, v16, v14, vcc_lo
	v_cndmask_b32_e32 v12, v15, v13, vcc_lo
	v_cmp_ne_u32_e32 vcc_lo, 0, v4
	v_cndmask_b32_e32 v6, v6, v5, vcc_lo
	v_cndmask_b32_e32 v5, v11, v12, vcc_lo
.LBB0_4:                                ;   in Loop: Header=BB0_2 Depth=1
	s_andn2_saveexec_b32 s0, s1
	s_cbranch_execz .LBB0_6
; %bb.5:                                ;   in Loop: Header=BB0_2 Depth=1
	v_cvt_f32_u32_e32 v4, s24
	s_sub_i32 s1, 0, s24
	v_rcp_iflag_f32_e32 v4, v4
	v_mul_f32_e32 v4, 0x4f7ffffe, v4
	v_cvt_u32_f32_e32 v4, v4
	v_mul_lo_u32 v5, s1, v4
	v_mul_hi_u32 v5, v4, v5
	v_add_nc_u32_e32 v4, v4, v5
	v_mul_hi_u32 v4, v9, v4
	v_mul_lo_u32 v5, v4, s24
	v_add_nc_u32_e32 v6, 1, v4
	v_sub_nc_u32_e32 v5, v9, v5
	v_subrev_nc_u32_e32 v11, s24, v5
	v_cmp_le_u32_e32 vcc_lo, s24, v5
	v_cndmask_b32_e32 v5, v5, v11, vcc_lo
	v_cndmask_b32_e32 v4, v4, v6, vcc_lo
	v_cmp_le_u32_e32 vcc_lo, s24, v5
	v_add_nc_u32_e32 v6, 1, v4
	v_cndmask_b32_e32 v5, v4, v6, vcc_lo
	v_mov_b32_e32 v6, v3
.LBB0_6:                                ;   in Loop: Header=BB0_2 Depth=1
	s_or_b32 exec_lo, exec_lo, s0
	v_mul_lo_u32 v4, v6, s24
	v_mul_lo_u32 v13, v5, s25
	s_load_dwordx2 s[0:1], s[6:7], 0x0
	v_mad_u64_u32 v[11:12], null, v5, s24, 0
	s_load_dwordx2 s[24:25], s[2:3], 0x0
	s_add_u32 s22, s22, 1
	s_addc_u32 s23, s23, 0
	s_add_u32 s2, s2, 8
	s_addc_u32 s3, s3, 0
	s_add_u32 s6, s6, 8
	v_add3_u32 v4, v12, v13, v4
	v_sub_co_u32 v9, vcc_lo, v9, v11
	s_addc_u32 s7, s7, 0
	s_add_u32 s20, s20, 8
	v_sub_co_ci_u32_e32 v4, vcc_lo, v10, v4, vcc_lo
	s_addc_u32 s21, s21, 0
	s_waitcnt lgkmcnt(0)
	v_mul_lo_u32 v10, s0, v4
	v_mul_lo_u32 v11, s1, v9
	v_mad_u64_u32 v[7:8], null, s0, v9, v[7:8]
	v_mul_lo_u32 v4, s24, v4
	v_mul_lo_u32 v12, s25, v9
	v_mad_u64_u32 v[1:2], null, s24, v9, v[1:2]
	v_cmp_ge_u64_e64 s0, s[22:23], s[14:15]
	v_add3_u32 v8, v11, v8, v10
	v_add3_u32 v2, v12, v2, v4
	s_and_b32 vcc_lo, exec_lo, s0
	s_cbranch_vccnz .LBB0_9
; %bb.7:                                ;   in Loop: Header=BB0_2 Depth=1
	v_mov_b32_e32 v10, v6
	v_mov_b32_e32 v9, v5
	s_branch .LBB0_2
.LBB0_8:
	v_mov_b32_e32 v1, v7
	v_mov_b32_e32 v5, v9
	;; [unrolled: 1-line block ×4, first 2 shown]
.LBB0_9:
	s_load_dwordx2 s[0:1], s[4:5], 0x28
	v_mul_hi_u32 v4, 0x226b903, v0
	s_lshl_b64 s[4:5], s[14:15], 3
                                        ; implicit-def: $vgpr3
	s_add_u32 s2, s18, s4
	s_addc_u32 s3, s19, s5
	s_waitcnt lgkmcnt(0)
	v_cmp_gt_u64_e32 vcc_lo, s[0:1], v[5:6]
	v_cmp_le_u64_e64 s0, s[0:1], v[5:6]
	s_and_saveexec_b32 s1, s0
	s_xor_b32 s0, exec_lo, s1
; %bb.10:
	v_mul_u32_u24_e32 v3, 0x77, v4
                                        ; implicit-def: $vgpr4
                                        ; implicit-def: $vgpr7_vgpr8
	v_sub_nc_u32_e32 v3, v0, v3
                                        ; implicit-def: $vgpr0
; %bb.11:
	s_andn2_saveexec_b32 s1, s0
	s_cbranch_execz .LBB0_13
; %bb.12:
	s_add_u32 s4, s16, s4
	s_addc_u32 s5, s17, s5
	v_lshlrev_b64 v[7:8], 2, v[7:8]
	s_load_dwordx2 s[4:5], s[4:5], 0x0
	s_waitcnt lgkmcnt(0)
	v_mul_lo_u32 v3, s5, v5
	v_mul_lo_u32 v11, s4, v6
	v_mad_u64_u32 v[9:10], null, s4, v5, 0
	v_add3_u32 v10, v10, v11, v3
	v_mul_u32_u24_e32 v3, 0x77, v4
	v_lshlrev_b64 v[9:10], 2, v[9:10]
	v_sub_nc_u32_e32 v3, v0, v3
	v_lshlrev_b32_e32 v15, 2, v3
	v_add_co_u32 v0, s0, s8, v9
	v_add_co_ci_u32_e64 v4, s0, s9, v10, s0
	v_add_co_u32 v0, s0, v0, v7
	v_add_co_ci_u32_e64 v4, s0, v4, v8, s0
	;; [unrolled: 2-line block ×6, first 2 shown]
	s_clause 0xf
	global_load_dword v0, v[7:8], off
	global_load_dword v4, v[7:8], off offset:476
	global_load_dword v16, v[7:8], off offset:952
	;; [unrolled: 1-line block ×15, first 2 shown]
	v_add_nc_u32_e32 v14, 0, v15
	v_add_nc_u32_e32 v15, 0x200, v14
	;; [unrolled: 1-line block ×8, first 2 shown]
	s_waitcnt vmcnt(14)
	ds_write2_b32 v14, v0, v4 offset1:119
	s_waitcnt vmcnt(12)
	ds_write2_b32 v15, v16, v17 offset0:110 offset1:229
	s_waitcnt vmcnt(10)
	ds_write2_b32 v23, v7, v8 offset0:92 offset1:211
	;; [unrolled: 2-line block ×7, first 2 shown]
.LBB0_13:
	s_or_b32 exec_lo, exec_lo, s1
	v_lshl_add_u32 v0, v3, 2, 0
	s_waitcnt lgkmcnt(0)
	s_barrier
	buffer_gl0_inv
	s_mov_b32 s1, exec_lo
	ds_read2_b32 v[7:8], v0 offset1:112
	v_add_nc_u32_e32 v24, 0x1800, v0
	ds_read_b32 v38, v0 offset:7168
	v_add_nc_u32_e32 v28, 0x200, v0
	v_add_nc_u32_e32 v25, 0x1400, v0
	v_add_nc_u32_e32 v29, 0x600, v0
	ds_read2_b32 v[9:10], v24 offset0:32 offset1:144
	ds_read2_b32 v[21:22], v28 offset0:96 offset1:208
	;; [unrolled: 1-line block ×4, first 2 shown]
	v_add_nc_u32_e32 v30, 0xa00, v0
	v_add_nc_u32_e32 v27, 0xc00, v0
	v_add_nc_u32_e32 v26, 0x1000, v0
	ds_read2_b32 v[17:18], v30 offset0:32 offset1:144
	ds_read2_b32 v[15:16], v27 offset0:128 offset1:240
	;; [unrolled: 1-line block ×3, first 2 shown]
	s_waitcnt lgkmcnt(0)
	s_barrier
	buffer_gl0_inv
	v_pk_add_f16 v36, v8, v38 neg_lo:[0,1] neg_hi:[0,1]
	v_pk_add_f16 v47, v38, v8
	v_pk_add_f16 v34, v21, v10 neg_lo:[0,1] neg_hi:[0,1]
	v_pk_add_f16 v46, v10, v21
	v_pk_mul_f16 v4, 0xb5c8, v36 op_sel_hi:[0,1]
	v_pk_add_f16 v32, v19, v12 neg_lo:[0,1] neg_hi:[0,1]
	v_pk_add_f16 v33, v22, v9 neg_lo:[0,1] neg_hi:[0,1]
	v_pk_add_f16 v41, v12, v19
	v_pk_mul_f16 v23, 0xb964, v34 op_sel_hi:[0,1]
	v_pk_fma_f16 v51, 0x3b76, v47, v4 op_sel:[0,0,1] op_sel_hi:[0,1,0] neg_lo:[0,0,1] neg_hi:[0,0,1]
	v_pk_fma_f16 v54, 0x3b76, v47, v4 op_sel:[0,0,1] op_sel_hi:[0,1,0]
	v_pk_mul_f16 v4, 0xbbf7, v32 op_sel_hi:[0,1]
	v_pk_add_f16 v43, v9, v22
	v_pk_mul_f16 v37, 0xbb29, v33 op_sel_hi:[0,1]
	v_pk_fma_f16 v52, 0x39e9, v46, v23 op_sel:[0,0,1] op_sel_hi:[0,1,0] neg_lo:[0,0,1] neg_hi:[0,0,1]
	v_pk_fma_f16 v53, 0x39e9, v46, v23 op_sel:[0,0,1] op_sel_hi:[0,1,0]
	v_pk_fma_f16 v48, 0x2de8, v41, v4 op_sel:[0,0,1] op_sel_hi:[0,1,0] neg_lo:[0,0,1] neg_hi:[0,0,1]
	v_add_f16_e32 v23, v7, v51
	v_pk_fma_f16 v55, 0x2de8, v41, v4 op_sel:[0,0,1] op_sel_hi:[0,1,0]
	v_add_f16_sdwa v4, v7, v54 dst_sel:DWORD dst_unused:UNUSED_PAD src0_sel:WORD_1 src1_sel:WORD_1
	v_pk_add_f16 v31, v20, v11 neg_lo:[0,1] neg_hi:[0,1]
	v_pk_fma_f16 v49, 0x3722, v43, v37 op_sel:[0,0,1] op_sel_hi:[0,1,0] neg_lo:[0,0,1] neg_hi:[0,0,1]
	v_pk_fma_f16 v50, 0x3722, v43, v37 op_sel:[0,0,1] op_sel_hi:[0,1,0]
	v_add_f16_e32 v23, v52, v23
	v_add_f16_sdwa v4, v53, v4 dst_sel:DWORD dst_unused:UNUSED_PAD src0_sel:WORD_1 src1_sel:DWORD
	v_pk_add_f16 v35, v11, v20
	v_pk_mul_f16 v39, 0xbbb2, v31 op_sel_hi:[0,1]
	v_pk_add_f16 v37, v17, v14 neg_lo:[0,1] neg_hi:[0,1]
	v_add_f16_e32 v23, v49, v23
	v_add_f16_sdwa v4, v50, v4 dst_sel:DWORD dst_unused:UNUSED_PAD src0_sel:WORD_1 src1_sel:DWORD
	v_pk_add_f16 v45, v14, v17
	v_pk_fma_f16 v56, 0xb461, v35, v39 op_sel:[0,0,1] op_sel_hi:[0,1,0] neg_lo:[0,0,1] neg_hi:[0,0,1]
	v_pk_mul_f16 v40, 0xba62, v37 op_sel_hi:[0,1]
	v_pk_fma_f16 v58, 0xb461, v35, v39 op_sel:[0,0,1] op_sel_hi:[0,1,0]
	v_pk_add_f16 v39, v18, v13 neg_lo:[0,1] neg_hi:[0,1]
	v_add_f16_e32 v23, v48, v23
	v_add_f16_sdwa v4, v55, v4 dst_sel:DWORD dst_unused:UNUSED_PAD src0_sel:WORD_1 src1_sel:DWORD
	v_pk_fma_f16 v57, 0xb8d2, v45, v40 op_sel:[0,0,1] op_sel_hi:[0,1,0] neg_lo:[0,0,1] neg_hi:[0,0,1]
	v_pk_add_f16 v42, v13, v18
	v_pk_mul_f16 v61, 0xb836, v39 op_sel_hi:[0,1]
	v_pk_fma_f16 v60, 0xb8d2, v45, v40 op_sel:[0,0,1] op_sel_hi:[0,1,0]
	v_add_f16_e32 v23, v56, v23
	v_pk_add_f16 v40, v15, v16 neg_lo:[0,1] neg_hi:[0,1]
	v_add_f16_sdwa v4, v58, v4 dst_sel:DWORD dst_unused:UNUSED_PAD src0_sel:WORD_1 src1_sel:DWORD
	v_pk_fma_f16 v59, 0xbacd, v42, v61 op_sel:[0,0,1] op_sel_hi:[0,1,0] neg_lo:[0,0,1] neg_hi:[0,0,1]
	v_pk_add_f16 v44, v16, v15
	v_add_f16_e32 v23, v57, v23
	v_pk_mul_f16 v62, 0xb1e1, v40 op_sel_hi:[0,1]
	v_pk_fma_f16 v63, 0xbacd, v42, v61 op_sel:[0,0,1] op_sel_hi:[0,1,0]
	v_add_f16_sdwa v4, v60, v4 dst_sel:DWORD dst_unused:UNUSED_PAD src0_sel:WORD_1 src1_sel:DWORD
	v_add_f16_e32 v23, v59, v23
	v_pk_fma_f16 v61, 0xbbdd, v44, v62 op_sel:[0,0,1] op_sel_hi:[0,1,0] neg_lo:[0,0,1] neg_hi:[0,0,1]
	v_pk_fma_f16 v62, 0xbbdd, v44, v62 op_sel:[0,0,1] op_sel_hi:[0,1,0]
	v_add_f16_sdwa v64, v63, v4 dst_sel:DWORD dst_unused:UNUSED_PAD src0_sel:WORD_1 src1_sel:DWORD
	v_add_f16_e32 v4, v61, v23
	v_add_f16_sdwa v23, v62, v64 dst_sel:DWORD dst_unused:UNUSED_PAD src0_sel:WORD_1 src1_sel:DWORD
	v_cmpx_gt_u32_e32 0x70, v3
	s_cbranch_execz .LBB0_15
; %bb.14:
	v_mul_f16_e32 v74, 0xb964, v36
	v_lshrrev_b32_e32 v76, 16, v47
	v_mul_f16_e32 v73, 0xbbf7, v34
	v_lshrrev_b32_e32 v75, 16, v46
	;; [unrolled: 2-line block ×3, first 2 shown]
	v_fmamk_f16 v64, v76, 0x39e9, v74
	v_mul_f16_e32 v67, 0xb1e1, v32
	v_fmamk_f16 v66, v75, 0x2de8, v73
	v_lshrrev_b32_e32 v69, 16, v41
	v_fmamk_f16 v77, v72, 0xb8d2, v71
	v_add_f16_sdwa v64, v7, v64 dst_sel:DWORD dst_unused:UNUSED_PAD src0_sel:WORD_1 src1_sel:DWORD
	v_pk_add_f16 v8, v7, v8
	v_mul_f16_e32 v68, 0x3836, v31
	v_lshrrev_b32_e32 v70, 16, v35
	v_fmamk_f16 v79, v69, 0xbbdd, v67
	v_add_f16_e32 v78, v66, v64
	v_mov_b32_e32 v104, 0xb964
	v_pk_add_f16 v8, v8, v21
	v_mul_f16_e32 v65, 0x3bb2, v37
	v_lshrrev_b32_e32 v66, 16, v45
	v_add_f16_e32 v78, v77, v78
	v_fmamk_f16 v80, v70, 0xbacd, v68
	v_pk_add_f16 v8, v8, v22
	v_mul_f16_sdwa v22, v36, v104 dst_sel:DWORD dst_unused:UNUSED_PAD src0_sel:WORD_1 src1_sel:DWORD
	v_mul_f16_e32 v64, 0x3b29, v39
	v_add_f16_e32 v78, v79, v78
	v_lshrrev_b32_e32 v77, 16, v42
	v_fmamk_f16 v79, v66, 0xb461, v65
	v_mov_b32_e32 v105, 0xbbf7
	v_pk_add_f16 v8, v8, v19
	v_add_f16_e32 v78, v80, v78
	v_fma_f16 v19, v47, 0x39e9, -v22
	v_mul_f16_e32 v21, 0x35c8, v40
	v_fmamk_f16 v80, v77, 0x3722, v64
	v_mov_b32_e32 v102, 0xba62
	v_add_f16_e32 v79, v79, v78
	v_mul_f16_sdwa v78, v34, v105 dst_sel:DWORD dst_unused:UNUSED_PAD src0_sel:WORD_1 src1_sel:DWORD
	v_pk_add_f16 v8, v8, v20
	v_add_f16_e32 v81, v7, v19
	v_lshrrev_b32_e32 v19, 16, v44
	v_add_f16_e32 v79, v80, v79
	v_fma_f16 v80, v46, 0x2de8, -v78
	v_mul_f16_sdwa v20, v33, v102 dst_sel:DWORD dst_unused:UNUSED_PAD src0_sel:WORD_1 src1_sel:DWORD
	v_pk_add_f16 v8, v8, v17
	v_fmamk_f16 v17, v19, 0x3b76, v21
	v_mov_b32_e32 v106, 0xb1e1
	v_add_f16_e32 v80, v80, v81
	v_fma_f16 v81, v43, 0xb8d2, -v20
	v_pk_add_f16 v18, v8, v18
	v_add_f16_e32 v8, v17, v79
	v_mul_f16_sdwa v17, v32, v106 dst_sel:DWORD dst_unused:UNUSED_PAD src0_sel:WORD_1 src1_sel:DWORD
	v_mov_b32_e32 v103, 0x3836
	v_mul_f16_e32 v88, 0xbb29, v36
	v_add_f16_e32 v80, v81, v80
	v_pk_add_f16 v15, v18, v15
	v_fma_f16 v18, v41, 0xbbdd, -v17
	v_mul_f16_sdwa v79, v31, v103 dst_sel:DWORD dst_unused:UNUSED_PAD src0_sel:WORD_1 src1_sel:DWORD
	v_mov_b32_e32 v107, 0x3bb2
	v_fmamk_f16 v81, v76, 0x3722, v88
	v_mul_f16_e32 v89, 0xba62, v34
	v_add_f16_e32 v80, v18, v80
	v_fma_f16 v82, v35, 0xbacd, -v79
	v_mul_f16_sdwa v18, v37, v107 dst_sel:DWORD dst_unused:UNUSED_PAD src0_sel:WORD_1 src1_sel:DWORD
	v_add_f16_sdwa v81, v7, v81 dst_sel:DWORD dst_unused:UNUSED_PAD src0_sel:WORD_1 src1_sel:DWORD
	v_fmamk_f16 v83, v75, 0xb8d2, v89
	v_mul_f16_e32 v90, 0x31e1, v33
	v_add_f16_e32 v80, v82, v80
	v_fma_f16 v82, v45, 0xb461, -v18
	v_mul_f16_e32 v86, 0x3bb2, v32
	v_add_f16_e32 v81, v83, v81
	v_fmamk_f16 v84, v72, 0xbbdd, v90
	v_mov_b32_e32 v108, 0x3b29
	v_pk_add_f16 v83, v15, v16
	v_add_f16_e32 v15, v82, v80
	v_fmamk_f16 v80, v69, 0xb461, v86
	v_add_f16_e32 v16, v84, v81
	v_mul_f16_e32 v87, 0x3964, v31
	v_mov_b32_e32 v109, 0xbb29
	v_mul_f16_sdwa v82, v39, v108 dst_sel:DWORD dst_unused:UNUSED_PAD src0_sel:WORD_1 src1_sel:DWORD
	v_mov_b32_e32 v84, 0x35c8
	v_add_f16_e32 v16, v80, v16
	v_fmamk_f16 v80, v70, 0x39e9, v87
	v_mul_f16_sdwa v93, v36, v109 dst_sel:DWORD dst_unused:UNUSED_PAD src0_sel:WORD_1 src1_sel:DWORD
	v_fma_f16 v81, v42, 0x3722, -v82
	v_mul_f16_e32 v91, 0xb5c8, v37
	v_mul_f16_sdwa v94, v34, v102 dst_sel:DWORD dst_unused:UNUSED_PAD src0_sel:WORD_1 src1_sel:DWORD
	v_add_f16_e32 v16, v80, v16
	v_fma_f16 v80, v47, 0x3722, -v93
	v_mov_b32_e32 v85, 0x31e1
	v_add_f16_e32 v15, v81, v15
	v_mul_f16_sdwa v81, v40, v84 dst_sel:DWORD dst_unused:UNUSED_PAD src0_sel:WORD_1 src1_sel:DWORD
	v_fmamk_f16 v95, v66, 0x3b76, v91
	v_add_f16_e32 v80, v7, v80
	v_fma_f16 v96, v46, 0xb8d2, -v94
	v_mul_f16_sdwa v98, v33, v85 dst_sel:DWORD dst_unused:UNUSED_PAD src0_sel:WORD_1 src1_sel:DWORD
	v_mul_f16_e32 v92, 0xbbf7, v39
	v_fma_f16 v85, v44, 0x3b76, -v81
	v_add_f16_e32 v16, v95, v16
	v_add_f16_e32 v80, v96, v80
	v_fma_f16 v96, v43, 0xbbdd, -v98
	v_mul_f16_sdwa v95, v32, v107 dst_sel:DWORD dst_unused:UNUSED_PAD src0_sel:WORD_1 src1_sel:DWORD
	v_mov_b32_e32 v110, 0x3964
	v_fmamk_f16 v97, v77, 0x2de8, v92
	v_add_f16_e32 v15, v85, v15
	v_add_f16_e32 v80, v96, v80
	v_fma_f16 v85, v41, 0xb461, -v95
	v_mul_f16_sdwa v96, v31, v110 dst_sel:DWORD dst_unused:UNUSED_PAD src0_sel:WORD_1 src1_sel:DWORD
	v_mov_b32_e32 v111, 0xb5c8
	v_mul_f16_e32 v112, 0xbbf7, v36
	v_add_f16_e32 v16, v97, v16
	v_mul_f16_e32 v100, 0xb836, v40
	v_add_f16_e32 v80, v85, v80
	v_fma_f16 v85, v35, 0x39e9, -v96
	v_mul_f16_sdwa v97, v37, v111 dst_sel:DWORD dst_unused:UNUSED_PAD src0_sel:WORD_1 src1_sel:DWORD
	v_fmamk_f16 v113, v76, 0x2de8, v112
	v_mul_f16_e32 v114, 0xb1e1, v34
	v_fmamk_f16 v101, v19, 0xbacd, v100
	v_add_f16_e32 v80, v85, v80
	v_fma_f16 v85, v45, 0x3b76, -v97
	v_mul_f16_sdwa v99, v39, v105 dst_sel:DWORD dst_unused:UNUSED_PAD src0_sel:WORD_1 src1_sel:DWORD
	v_add_f16_sdwa v113, v7, v113 dst_sel:DWORD dst_unused:UNUSED_PAD src0_sel:WORD_1 src1_sel:DWORD
	v_fmamk_f16 v115, v75, 0xbbdd, v114
	v_mul_f16_e32 v116, 0x3bb2, v33
	v_add_f16_e32 v80, v85, v80
	v_fma_f16 v85, v42, 0x2de8, -v99
	v_add_f16_e32 v16, v101, v16
	v_add_f16_e32 v101, v115, v113
	v_fmamk_f16 v113, v72, 0xb461, v116
	v_mul_f16_e32 v115, 0x35c8, v32
	v_mul_f16_sdwa v118, v36, v105 dst_sel:DWORD dst_unused:UNUSED_PAD src0_sel:WORD_1 src1_sel:DWORD
	v_add_f16_e32 v80, v85, v80
	v_mov_b32_e32 v117, 0xb836
	v_add_f16_e32 v85, v113, v101
	v_fmamk_f16 v113, v69, 0x3b76, v115
	v_mul_f16_e32 v119, 0xbb29, v31
	v_fma_f16 v120, v47, 0x2de8, -v118
	v_mul_f16_sdwa v121, v34, v106 dst_sel:DWORD dst_unused:UNUSED_PAD src0_sel:WORD_1 src1_sel:DWORD
	v_mul_f16_sdwa v101, v40, v117 dst_sel:DWORD dst_unused:UNUSED_PAD src0_sel:WORD_1 src1_sel:DWORD
	v_add_f16_e32 v85, v113, v85
	v_fmamk_f16 v113, v70, 0x3722, v119
	v_mul_f16_e32 v122, 0xb836, v37
	v_add_f16_e32 v120, v7, v120
	v_fma_f16 v123, v46, 0xbbdd, -v121
	v_mul_f16_sdwa v124, v33, v107 dst_sel:DWORD dst_unused:UNUSED_PAD src0_sel:WORD_1 src1_sel:DWORD
	v_fma_f16 v125, v44, 0xbacd, -v101
	v_add_f16_e32 v85, v113, v85
	v_fmamk_f16 v113, v66, 0xbacd, v122
	v_add_f16_e32 v120, v123, v120
	v_fma_f16 v123, v43, 0xb461, -v124
	v_mul_f16_sdwa v126, v32, v84 dst_sel:DWORD dst_unused:UNUSED_PAD src0_sel:WORD_1 src1_sel:DWORD
	v_add_f16_e32 v80, v125, v80
	v_mul_f16_e32 v125, 0x3a62, v39
	v_add_f16_e32 v84, v113, v85
	v_add_f16_e32 v85, v123, v120
	v_fma_f16 v113, v41, 0x3b76, -v126
	v_mul_f16_sdwa v120, v31, v109 dst_sel:DWORD dst_unused:UNUSED_PAD src0_sel:WORD_1 src1_sel:DWORD
	v_mul_f16_e32 v128, 0xbbb2, v36
	v_fmamk_f16 v123, v77, 0xb8d2, v125
	v_mul_f16_e32 v127, 0x3964, v40
	v_add_f16_e32 v85, v113, v85
	v_fma_f16 v113, v35, 0x3722, -v120
	v_fmamk_f16 v129, v76, 0xb461, v128
	v_mul_f16_e32 v130, 0x3836, v34
	v_add_f16_e32 v84, v123, v84
	v_fmamk_f16 v123, v19, 0x39e9, v127
	v_add_f16_e32 v85, v113, v85
	v_mul_f16_sdwa v113, v37, v117 dst_sel:DWORD dst_unused:UNUSED_PAD src0_sel:WORD_1 src1_sel:DWORD
	v_mov_b32_e32 v131, 0x3a62
	v_add_f16_sdwa v129, v7, v129 dst_sel:DWORD dst_unused:UNUSED_PAD src0_sel:WORD_1 src1_sel:DWORD
	v_fmamk_f16 v132, v75, 0xbacd, v130
	v_mul_f16_e32 v133, 0x3964, v33
	v_fma_f16 v134, v45, 0xbacd, -v113
	v_add_f16_e32 v84, v123, v84
	v_mul_f16_sdwa v123, v39, v131 dst_sel:DWORD dst_unused:UNUSED_PAD src0_sel:WORD_1 src1_sel:DWORD
	v_add_f16_e32 v129, v132, v129
	v_fmamk_f16 v132, v72, 0x39e9, v133
	v_add_f16_e32 v85, v134, v85
	v_mul_f16_sdwa v136, v40, v110 dst_sel:DWORD dst_unused:UNUSED_PAD src0_sel:WORD_1 src1_sel:DWORD
	v_fma_f16 v135, v42, 0xb8d2, -v123
	v_mul_f16_sdwa v141, v34, v103 dst_sel:DWORD dst_unused:UNUSED_PAD src0_sel:WORD_1 src1_sel:DWORD
	v_add_f16_e32 v129, v132, v129
	v_mov_b32_e32 v132, 0xbbb2
	v_mul_f16_e32 v134, 0xbb29, v32
	v_add_f16_e32 v85, v135, v85
	v_fma_f16 v135, v44, 0x39e9, -v136
	v_fma_f16 v142, v46, 0xbacd, -v141
	v_mul_f16_sdwa v139, v36, v132 dst_sel:DWORD dst_unused:UNUSED_PAD src0_sel:WORD_1 src1_sel:DWORD
	v_mul_f16_sdwa v143, v33, v110 dst_sel:DWORD dst_unused:UNUSED_PAD src0_sel:WORD_1 src1_sel:DWORD
	v_fmamk_f16 v137, v69, 0x3722, v134
	v_add_f16_e32 v85, v135, v85
	v_mul_f16_e32 v138, 0xb1e1, v31
	v_fma_f16 v135, v47, 0xb461, -v139
	v_mul_f16_e32 v145, 0xba62, v36
	v_mul_f16_sdwa v109, v32, v109 dst_sel:DWORD dst_unused:UNUSED_PAD src0_sel:WORD_1 src1_sel:DWORD
	v_add_f16_e32 v129, v137, v129
	v_fmamk_f16 v137, v70, 0xbbdd, v138
	v_add_f16_e32 v135, v7, v135
	v_mul_f16_e32 v140, 0x3bf7, v37
	v_mul_f16_e32 v146, 0x3bb2, v34
	v_fma_f16 v147, v41, 0x3722, -v109
	v_mul_f16_sdwa v148, v31, v106 dst_sel:DWORD dst_unused:UNUSED_PAD src0_sel:WORD_1 src1_sel:DWORD
	v_add_f16_e32 v135, v142, v135
	v_fma_f16 v142, v43, 0x39e9, -v143
	v_mov_b32_e32 v149, 0x3bf7
	v_add_f16_e32 v103, v137, v129
	v_fmamk_f16 v129, v66, 0x2de8, v140
	v_mul_f16_e32 v137, 0xb5c8, v39
	v_add_f16_e32 v135, v142, v135
	v_fmamk_f16 v142, v76, 0xb8d2, v145
	v_fmamk_f16 v150, v75, 0xb461, v146
	v_mul_f16_e32 v151, 0xb5c8, v33
	v_mul_f16_sdwa v152, v37, v149 dst_sel:DWORD dst_unused:UNUSED_PAD src0_sel:WORD_1 src1_sel:DWORD
	v_add_f16_e32 v135, v147, v135
	v_add_f16_sdwa v142, v7, v142 dst_sel:DWORD dst_unused:UNUSED_PAD src0_sel:WORD_1 src1_sel:DWORD
	v_fma_f16 v147, v35, 0xbbdd, -v148
	v_add_f16_e32 v103, v129, v103
	v_fmamk_f16 v129, v77, 0x3b76, v137
	v_mul_f16_e32 v144, 0xba62, v40
	v_add_f16_e32 v142, v150, v142
	v_fmamk_f16 v150, v72, 0x3b76, v151
	v_mul_f16_e32 v153, 0xb836, v32
	v_add_f16_e32 v135, v147, v135
	v_fma_f16 v147, v45, 0x2de8, -v152
	v_mul_f16_sdwa v154, v39, v111 dst_sel:DWORD dst_unused:UNUSED_PAD src0_sel:WORD_1 src1_sel:DWORD
	v_add_f16_e32 v103, v129, v103
	v_fmamk_f16 v129, v19, 0xb8d2, v144
	v_add_f16_e32 v142, v150, v142
	v_fmamk_f16 v150, v69, 0xbacd, v153
	v_mul_f16_e32 v155, 0x3bf7, v31
	v_add_f16_e32 v135, v147, v135
	v_fma_f16 v147, v42, 0x3b76, -v154
	v_mul_f16_sdwa v157, v36, v102 dst_sel:DWORD dst_unused:UNUSED_PAD src0_sel:WORD_1 src1_sel:DWORD
	v_mul_f16_sdwa v156, v40, v102 dst_sel:DWORD dst_unused:UNUSED_PAD src0_sel:WORD_1 src1_sel:DWORD
	v_add_f16_e32 v142, v150, v142
	v_fmamk_f16 v150, v70, 0x2de8, v155
	v_mul_f16_e32 v158, 0xb964, v37
	v_add_f16_e32 v102, v129, v103
	v_add_f16_e32 v103, v147, v135
	v_fma_f16 v135, v47, 0xb8d2, -v157
	v_mul_f16_sdwa v107, v34, v107 dst_sel:DWORD dst_unused:UNUSED_PAD src0_sel:WORD_1 src1_sel:DWORD
	v_fma_f16 v129, v44, 0xb8d2, -v156
	v_add_f16_e32 v142, v150, v142
	v_fmamk_f16 v147, v66, 0x39e9, v158
	v_add_f16_e32 v135, v7, v135
	v_fma_f16 v159, v46, 0xb461, -v107
	v_mul_f16_sdwa v160, v33, v111 dst_sel:DWORD dst_unused:UNUSED_PAD src0_sel:WORD_1 src1_sel:DWORD
	v_add_f16_e32 v103, v129, v103
	v_add_f16_e32 v129, v147, v142
	v_mul_f16_sdwa v149, v31, v149 dst_sel:DWORD dst_unused:UNUSED_PAD src0_sel:WORD_1 src1_sel:DWORD
	v_add_f16_e32 v135, v159, v135
	v_fma_f16 v147, v43, 0x3b76, -v160
	v_mul_f16_sdwa v159, v32, v117 dst_sel:DWORD dst_unused:UNUSED_PAD src0_sel:WORD_1 src1_sel:DWORD
	v_mul_f16_sdwa v165, v37, v104 dst_sel:DWORD dst_unused:UNUSED_PAD src0_sel:WORD_1 src1_sel:DWORD
	;; [unrolled: 1-line block ×4, first 2 shown]
	v_add_f16_e32 v135, v147, v135
	v_fma_f16 v147, v41, 0xbacd, -v159
	v_mul_f16_e32 v150, 0xb1e1, v39
	v_mul_f16_sdwa v105, v33, v105 dst_sel:DWORD dst_unused:UNUSED_PAD src0_sel:WORD_1 src1_sel:DWORD
	v_fma_f16 v171, v47, 0xbacd, -v117
	v_mul_f16_sdwa v131, v32, v131 dst_sel:DWORD dst_unused:UNUSED_PAD src0_sel:WORD_1 src1_sel:DWORD
	v_add_f16_e32 v135, v147, v135
	v_fma_f16 v147, v35, 0x2de8, -v149
	v_fmamk_f16 v142, v77, 0xbbdd, v150
	v_add_f16_e32 v171, v7, v171
	v_mul_f16_e32 v164, 0x3b29, v34
	v_mul_f16_sdwa v111, v31, v111 dst_sel:DWORD dst_unused:UNUSED_PAD src0_sel:WORD_1 src1_sel:DWORD
	v_add_f16_e32 v135, v147, v135
	v_fma_f16 v147, v45, 0x39e9, -v165
	v_add_f16_e32 v129, v142, v129
	v_mul_f16_e32 v142, 0xb836, v36
	v_mul_f16_e32 v166, 0xbbf7, v33
	v_mul_f16_sdwa v106, v37, v106 dst_sel:DWORD dst_unused:UNUSED_PAD src0_sel:WORD_1 src1_sel:DWORD
	v_add_f16_e32 v135, v147, v135
	v_fma_f16 v147, v42, 0xbbdd, -v167
	v_fmamk_f16 v163, v76, 0xbacd, v142
	v_fma_f16 v142, v76, 0xbacd, -v142
	v_fmac_f16_e32 v117, 0xbacd, v47
	v_fmamk_f16 v168, v72, 0x2de8, v166
	v_add_f16_e32 v135, v147, v135
	v_mul_f16_sdwa v147, v40, v108 dst_sel:DWORD dst_unused:UNUSED_PAD src0_sel:WORD_1 src1_sel:DWORD
	v_mul_f16_sdwa v108, v34, v108 dst_sel:DWORD dst_unused:UNUSED_PAD src0_sel:WORD_1 src1_sel:DWORD
	v_add_f16_sdwa v104, v7, v163 dst_sel:DWORD dst_unused:UNUSED_PAD src0_sel:WORD_1 src1_sel:DWORD
	v_fmamk_f16 v163, v75, 0x3722, v164
	v_add_f16_sdwa v142, v7, v142 dst_sel:DWORD dst_unused:UNUSED_PAD src0_sel:WORD_1 src1_sel:DWORD
	v_fma_f16 v170, v44, 0x3722, -v147
	v_fma_f16 v173, v46, 0x3722, -v108
	;; [unrolled: 1-line block ×3, first 2 shown]
	v_add_f16_e32 v117, v7, v117
	v_fmac_f16_e32 v108, 0x3722, v46
	v_add_f16_e32 v135, v170, v135
	v_add_f16_e32 v170, v173, v171
	v_fma_f16 v171, v43, 0x2de8, -v105
	v_add_f16_e32 v142, v164, v142
	v_fma_f16 v164, v72, 0x2de8, -v166
	v_mul_f16_sdwa v110, v39, v110 dst_sel:DWORD dst_unused:UNUSED_PAD src0_sel:WORD_1 src1_sel:DWORD
	v_add_f16_e32 v108, v108, v117
	v_add_f16_e32 v170, v171, v170
	v_fma_f16 v171, v41, 0xb8d2, -v131
	v_fmac_f16_e32 v105, 0x2de8, v43
	v_fma_f16 v117, v42, 0x39e9, -v110
	v_mul_f16_sdwa v132, v40, v132 dst_sel:DWORD dst_unused:UNUSED_PAD src0_sel:WORD_1 src1_sel:DWORD
	v_fmac_f16_e32 v131, 0xb8d2, v41
	v_add_f16_e32 v170, v171, v170
	v_fma_f16 v171, v35, 0x3b76, -v111
	v_add_f16_e32 v105, v105, v108
	v_fmac_f16_e32 v111, 0x3b76, v35
	v_fmac_f16_e32 v22, 0x39e9, v47
	;; [unrolled: 1-line block ×3, first 2 shown]
	v_add_f16_e32 v166, v171, v170
	v_fma_f16 v170, v45, 0xbbdd, -v106
	v_add_f16_e32 v105, v131, v105
	v_fmac_f16_e32 v106, 0xbbdd, v45
	v_add_f16_e32 v22, v7, v22
	v_fmac_f16_e32 v157, 0xb8d2, v47
	v_add_f16_e32 v166, v170, v166
	v_add_f16_e32 v105, v111, v105
	v_fmac_f16_e32 v110, 0x39e9, v42
	v_add_f16_e32 v22, v78, v22
	v_fmac_f16_e32 v20, 0xb8d2, v43
	v_add_f16_e32 v108, v117, v166
	v_fma_f16 v117, v44, 0xb461, -v132
	v_add_f16_e32 v105, v106, v105
	v_bfi_b32 v51, 0xffff, v54, v51
	v_mul_f16_e32 v161, 0x3b29, v40
	v_fmac_f16_e32 v107, 0xb461, v46
	v_add_f16_e32 v108, v117, v108
	v_fma_f16 v117, v76, 0xb8d2, -v145
	v_add_f16_e32 v105, v110, v105
	v_fma_f16 v110, v69, 0xbacd, -v153
	v_fma_f16 v88, v76, 0x3722, -v88
	;; [unrolled: 1-line block ×3, first 2 shown]
	v_add_f16_sdwa v111, v7, v117 dst_sel:DWORD dst_unused:UNUSED_PAD src0_sel:WORD_1 src1_sel:DWORD
	v_fma_f16 v117, v75, 0xb461, -v146
	v_add_f16_e32 v20, v20, v22
	v_bfi_b32 v22, 0xffff, v53, v52
	v_pk_add_f16 v51, v7, v51
	v_fmamk_f16 v162, v19, 0x3722, v161
	v_add_f16_e32 v106, v117, v111
	v_fma_f16 v111, v72, 0x3b76, -v151
	v_add_f16_e32 v117, v7, v157
	v_add_f16_e32 v163, v163, v104
	v_mul_f16_e32 v169, 0x3a62, v32
	v_add_f16_sdwa v88, v7, v88 dst_sel:DWORD dst_unused:UNUSED_PAD src0_sel:WORD_1 src1_sel:DWORD
	v_add_f16_e32 v106, v111, v106
	v_fma_f16 v111, v76, 0xb461, -v128
	v_add_f16_e32 v107, v107, v117
	v_fma_f16 v117, v75, 0xbacd, -v130
	v_fma_f16 v89, v75, 0xb8d2, -v89
	v_add_f16_e32 v106, v110, v106
	v_fma_f16 v110, v70, 0x2de8, -v155
	v_add_f16_sdwa v111, v7, v111 dst_sel:DWORD dst_unused:UNUSED_PAD src0_sel:WORD_1 src1_sel:DWORD
	v_fma_f16 v73, v75, 0x2de8, -v73
	v_add_f16_sdwa v74, v7, v74 dst_sel:DWORD dst_unused:UNUSED_PAD src0_sel:WORD_1 src1_sel:DWORD
	v_fmac_f16_e32 v17, 0xbbdd, v41
	v_bfi_b32 v49, 0xffff, v50, v49
	v_pk_add_f16 v13, v83, v13
	v_pk_add_f16 v22, v22, v51
	v_add_f16_e32 v104, v162, v129
	v_add_f16_e32 v129, v168, v163
	v_fmamk_f16 v162, v69, 0xb8d2, v169
	v_mul_f16_e32 v163, 0xb5c8, v31
	v_add_f16_e32 v106, v110, v106
	v_fma_f16 v110, v66, 0x39e9, -v158
	v_add_f16_e32 v111, v117, v111
	v_fma_f16 v117, v72, 0x39e9, -v133
	v_add_f16_e32 v88, v89, v88
	v_fma_f16 v89, v72, 0xbbdd, -v90
	v_add_f16_e32 v73, v73, v74
	v_fma_f16 v71, v72, 0xb8d2, -v71
	v_add_f16_e32 v17, v17, v20
	v_bfi_b32 v20, 0xffff, v55, v48
	v_pk_add_f16 v13, v13, v14
	v_pk_add_f16 v14, v49, v22
	v_add_f16_e32 v129, v162, v129
	v_fmamk_f16 v162, v70, 0x3b76, v163
	v_mul_f16_e32 v168, 0xb1e1, v37
	v_add_f16_e32 v142, v164, v142
	v_fma_f16 v164, v69, 0xb8d2, -v169
	v_add_f16_e32 v106, v110, v106
	v_fma_f16 v110, v77, 0xbbdd, -v150
	;; [unrolled: 2-line block ×5, first 2 shown]
	v_fmac_f16_e32 v79, 0xbacd, v35
	v_bfi_b32 v48, 0xffff, v58, v56
	v_pk_add_f16 v11, v13, v11
	v_pk_add_f16 v13, v20, v14
	v_add_f16_e32 v129, v162, v129
	v_fmamk_f16 v162, v66, 0xbbdd, v168
	v_mul_f16_e32 v172, 0x3964, v39
	v_add_f16_e32 v142, v164, v142
	v_fma_f16 v163, v70, 0x3b76, -v163
	v_add_f16_e32 v106, v110, v106
	v_fma_f16 v110, v19, 0x3722, -v161
	;; [unrolled: 2-line block ×5, first 2 shown]
	v_add_f16_e32 v17, v79, v17
	v_fmac_f16_e32 v18, 0xb461, v45
	v_bfi_b32 v20, 0xffff, v60, v57
	v_pk_add_f16 v11, v11, v12
	v_pk_add_f16 v12, v48, v13
	v_add_f16_e32 v129, v162, v129
	v_fmamk_f16 v162, v77, 0x39e9, v172
	v_add_f16_e32 v142, v163, v142
	v_fma_f16 v163, v66, 0xbbdd, -v168
	v_add_f16_e32 v106, v110, v106
	v_add_f16_e32 v110, v117, v111
	v_fma_f16 v111, v66, 0x2de8, -v140
	v_add_f16_e32 v86, v87, v86
	v_fma_f16 v87, v66, 0x3b76, -v91
	;; [unrolled: 2-line block ×3, first 2 shown]
	v_add_f16_e32 v13, v18, v17
	v_bfi_b32 v17, 0xffff, v63, v59
	v_pk_add_f16 v9, v11, v9
	v_pk_add_f16 v11, v20, v12
	v_add_f16_e32 v129, v162, v129
	v_mul_f16_e32 v162, 0xbbb2, v40
	v_add_f16_e32 v142, v163, v142
	v_fma_f16 v163, v77, 0x39e9, -v172
	v_add_f16_e32 v110, v111, v110
	v_fma_f16 v111, v77, 0x3b76, -v137
	v_fma_f16 v112, v76, 0x2de8, -v112
	v_add_f16_e32 v76, v87, v86
	v_fma_f16 v86, v77, 0x2de8, -v92
	v_add_f16_e32 v52, v54, v67
	v_fma_f16 v22, v77, 0x3722, -v64
	v_bfi_b32 v18, 0xffff, v62, v61
	v_pk_add_f16 v9, v9, v10
	v_pk_add_f16 v10, v17, v11
	v_pk_mul_f16 v11, 0xbbdd, v47 op_sel_hi:[0,1]
	v_fmamk_f16 v173, v19, 0xb461, v162
	v_add_f16_e32 v131, v163, v142
	v_fma_f16 v142, v19, 0xb461, -v162
	v_add_f16_e32 v110, v111, v110
	v_add_f16_sdwa v111, v7, v112 dst_sel:DWORD dst_unused:UNUSED_PAD src0_sel:WORD_1 src1_sel:DWORD
	v_fma_f16 v112, v75, 0xbbdd, -v114
	v_fma_f16 v114, v19, 0xb8d2, -v144
	;; [unrolled: 1-line block ×3, first 2 shown]
	v_add_f16_e32 v76, v86, v76
	v_fma_f16 v86, v19, 0xbacd, -v100
	v_add_f16_e32 v14, v22, v52
	v_fma_f16 v12, v19, 0x3b76, -v21
	v_lshl_add_u32 v17, v3, 6, v0
	v_pk_add_f16 v9, v9, v38
	v_pk_add_f16 v10, v18, v10
	v_pk_fma_f16 v18, 0xb1e1, v36, v11 op_sel:[0,0,1] op_sel_hi:[0,1,0]
	v_alignbit_b32 v19, s0, v7, 16
	v_pk_mul_f16 v20, 0x3b76, v46 op_sel_hi:[0,1]
	v_fmac_f16_e32 v93, 0x3722, v47
	v_fmac_f16_e32 v139, 0xb461, v47
	;; [unrolled: 1-line block ×3, first 2 shown]
	v_add_f16_e32 v12, v12, v14
	ds_write2_b32 v17, v9, v10 offset1:1
	v_pk_add_f16 v9, v19, v18
	v_pk_fma_f16 v10, 0x35c8, v34, v20 op_sel:[0,0,1] op_sel_hi:[0,1,0]
	v_pk_mul_f16 v14, 0xbacd, v43 op_sel_hi:[0,1]
	v_pk_fma_f16 v11, 0xb1e1, v36, v11 op_sel:[0,0,1] op_sel_hi:[0,1,0] neg_lo:[0,1,0] neg_hi:[0,1,0]
	v_alignbit_b32 v18, s0, v18, 16
	v_add_f16_e32 v93, v7, v93
	v_fmac_f16_e32 v94, 0xb8d2, v46
	v_add_f16_e32 v128, v7, v139
	v_fmac_f16_e32 v141, 0xbacd, v46
	v_add_f16_e32 v111, v112, v111
	v_fma_f16 v112, v72, 0xb461, -v116
	v_add_f16_e32 v116, v7, v118
	v_fmac_f16_e32 v121, 0xbbdd, v46
	v_pk_add_f16 v9, v10, v9
	v_pk_fma_f16 v21, 0xb836, v33, v14 op_sel:[0,0,1] op_sel_hi:[0,1,0]
	v_pk_mul_f16 v22, 0x39e9, v41 op_sel_hi:[0,1]
	v_pk_add_f16 v11, v7, v11 op_sel:[1,0] op_sel_hi:[0,1]
	v_pk_fma_f16 v20, 0x35c8, v34, v20 op_sel:[0,0,1] op_sel_hi:[0,1,0] neg_lo:[0,1,0] neg_hi:[0,1,0]
	v_pk_add_f16 v7, v7, v18
	v_alignbit_b32 v10, s0, v10, 16
	v_add_f16_e32 v88, v94, v93
	v_fmac_f16_e32 v98, 0xbbdd, v43
	v_add_f16_e32 v117, v141, v128
	v_fmac_f16_e32 v143, 0x39e9, v43
	v_add_f16_e32 v111, v112, v111
	v_fma_f16 v112, v69, 0x3b76, -v115
	v_add_f16_e32 v115, v121, v116
	v_fmac_f16_e32 v124, 0xb461, v43
	v_fmac_f16_e32 v160, 0x3b76, v43
	v_pk_fma_f16 v38, 0x3964, v32, v22 op_sel:[0,0,1] op_sel_hi:[0,1,0]
	v_pk_mul_f16 v18, 0xb8d2, v35 op_sel_hi:[0,1]
	v_pk_add_f16 v11, v20, v11
	v_pk_fma_f16 v14, 0xb836, v33, v14 op_sel:[0,0,1] op_sel_hi:[0,1,0] neg_lo:[0,1,0] neg_hi:[0,1,0]
	v_pk_add_f16 v7, v10, v7
	v_alignbit_b32 v10, s0, v21, 16
	v_add_f16_e32 v88, v98, v88
	v_fmac_f16_e32 v95, 0xb461, v41
	v_add_f16_e32 v117, v143, v117
	v_fmac_f16_e32 v109, 0x3722, v41
	v_add_f16_e32 v111, v112, v111
	v_fma_f16 v112, v70, 0x3722, -v119
	v_add_f16_e32 v110, v114, v110
	v_add_f16_e32 v114, v124, v115
	v_fmac_f16_e32 v126, 0x3b76, v41
	v_add_f16_e32 v107, v160, v107
	v_fmac_f16_e32 v159, 0xbacd, v41
	v_pk_add_f16 v9, v21, v9
	v_pk_fma_f16 v20, 0xba62, v31, v18 op_sel:[0,0,1] op_sel_hi:[0,1,0]
	v_pk_mul_f16 v21, 0x3722, v45 op_sel_hi:[0,1]
	v_pk_add_f16 v11, v14, v11
	v_pk_fma_f16 v14, 0x3964, v32, v22 op_sel:[0,0,1] op_sel_hi:[0,1,0] neg_lo:[0,1,0] neg_hi:[0,1,0]
	v_pk_add_f16 v7, v10, v7
	v_alignbit_b32 v10, s0, v38, 16
	v_add_f16_e32 v75, v95, v88
	v_fmac_f16_e32 v96, 0x39e9, v35
	v_add_f16_e32 v109, v109, v117
	v_fmac_f16_e32 v148, 0xbbdd, v35
	v_add_f16_e32 v111, v112, v111
	v_fma_f16 v112, v66, 0xbacd, -v122
	v_add_f16_e32 v114, v126, v114
	v_fmac_f16_e32 v120, 0x3722, v35
	v_add_f16_e32 v107, v159, v107
	v_fmac_f16_e32 v149, 0x2de8, v35
	v_pk_add_f16 v9, v38, v9
	v_pk_fma_f16 v22, 0x3b29, v37, v21 op_sel:[0,0,1] op_sel_hi:[0,1,0]
	v_pk_add_f16 v11, v14, v11
	v_pk_fma_f16 v14, 0xba62, v31, v18 op_sel:[0,0,1] op_sel_hi:[0,1,0] neg_lo:[0,1,0] neg_hi:[0,1,0]
	v_pk_add_f16 v7, v10, v7
	v_alignbit_b32 v10, s0, v20, 16
	v_pk_mul_f16 v18, 0xb461, v42 op_sel_hi:[0,1]
	v_add_f16_e32 v72, v96, v75
	v_fmac_f16_e32 v97, 0x3b76, v45
	v_add_f16_e32 v109, v148, v109
	v_fmac_f16_e32 v152, 0x2de8, v45
	v_add_f16_e32 v111, v112, v111
	v_fma_f16 v112, v77, 0xb8d2, -v125
	v_add_f16_e32 v114, v120, v114
	v_fmac_f16_e32 v113, 0xbacd, v45
	v_add_f16_e32 v107, v149, v107
	v_fmac_f16_e32 v165, 0x39e9, v45
	v_pk_add_f16 v9, v20, v9
	v_pk_add_f16 v11, v14, v11
	v_pk_fma_f16 v14, 0x3b29, v37, v21 op_sel:[0,0,1] op_sel_hi:[0,1,0] neg_lo:[0,1,0] neg_hi:[0,1,0]
	v_pk_add_f16 v7, v10, v7
	v_alignbit_b32 v10, s0, v22, 16
	v_pk_fma_f16 v20, 0xbbb2, v39, v18 op_sel:[0,0,1] op_sel_hi:[0,1,0]
	v_pk_mul_f16 v21, 0x2de8, v44 op_sel_hi:[0,1]
	v_add_f16_e32 v69, v97, v72
	v_fmac_f16_e32 v99, 0x2de8, v42
	v_fmac_f16_e32 v82, 0x3722, v42
	v_add_f16_e32 v109, v152, v109
	v_fmac_f16_e32 v154, 0x3b76, v42
	v_add_f16_e32 v90, v112, v111
	v_add_f16_e32 v111, v113, v114
	v_fmac_f16_e32 v123, 0xb8d2, v42
	v_add_f16_e32 v107, v165, v107
	v_fmac_f16_e32 v167, 0xbbdd, v42
	v_pk_add_f16 v9, v22, v9
	v_pk_add_f16 v11, v14, v11
	v_pk_fma_f16 v14, 0xbbb2, v39, v18 op_sel:[0,0,1] op_sel_hi:[0,1,0] neg_lo:[0,1,0] neg_hi:[0,1,0]
	v_pk_add_f16 v7, v10, v7
	v_alignbit_b32 v10, s0, v20, 16
	v_pk_fma_f16 v18, 0x3bf7, v40, v21 op_sel:[0,0,1] op_sel_hi:[0,1,0]
	v_add_f16_e32 v69, v99, v69
	v_fmac_f16_e32 v101, 0xbacd, v44
	v_add_f16_e32 v13, v82, v13
	v_fmac_f16_e32 v81, 0x3b76, v44
	;; [unrolled: 2-line block ×4, first 2 shown]
	v_fmac_f16_e32 v132, 0xb461, v44
	v_add_f16_e32 v107, v167, v107
	v_fmac_f16_e32 v147, 0x3722, v44
	v_pk_add_f16 v9, v20, v9
	v_pk_add_f16 v11, v14, v11
	v_pk_fma_f16 v14, 0x3bf7, v40, v21 op_sel:[0,0,1] op_sel_hi:[0,1,0] neg_lo:[0,1,0] neg_hi:[0,1,0]
	v_pk_add_f16 v7, v10, v7
	v_alignbit_b32 v10, s0, v18, 16
	v_add_f16_e32 v74, v86, v76
	v_add_f16_e32 v65, v101, v69
	;; [unrolled: 1-line block ×9, first 2 shown]
	v_pk_add_f16 v9, v18, v9
	v_pk_add_f16 v11, v14, v11
	;; [unrolled: 1-line block ×3, first 2 shown]
	v_add_f16_e32 v129, v173, v129
	v_pack_b32_f16 v19, v65, v74
	v_pack_b32_f16 v12, v13, v12
	;; [unrolled: 1-line block ×6, first 2 shown]
	v_alignbit_b32 v9, v9, v11, 16
	v_pack_b32_f16 v7, v7, v11
	v_pack_b32_f16 v10, v135, v104
	;; [unrolled: 1-line block ×3, first 2 shown]
	ds_write2_b32 v17, v12, v19 offset0:2 offset1:3
	ds_write2_b32 v17, v36, v13 offset0:4 offset1:5
	;; [unrolled: 1-line block ×3, first 2 shown]
	v_pack_b32_f16 v12, v85, v84
	v_pack_b32_f16 v13, v103, v102
	;; [unrolled: 1-line block ×4, first 2 shown]
	v_perm_b32 v15, v23, v4, 0x5040100
	ds_write2_b32 v17, v7, v9 offset0:8 offset1:9
	ds_write2_b32 v17, v11, v10 offset0:10 offset1:11
	ds_write2_b32 v17, v13, v12 offset0:12 offset1:13
	ds_write2_b32 v17, v14, v8 offset0:14 offset1:15
	ds_write_b32 v17, v15 offset:64
.LBB0_15:
	s_or_b32 exec_lo, exec_lo, s1
	v_mov_b32_e32 v7, 0xf0f1
	v_add_nc_u32_e32 v42, 0x341, v3
	v_add_nc_u32_e32 v21, 0xee, v3
	;; [unrolled: 1-line block ×3, first 2 shown]
	v_add_nc_u16 v37, v3, 0x77
	v_add_nc_u32_e32 v36, 0x1dc, v3
	v_mul_u32_u24_sdwa v46, v42, v7 dst_sel:DWORD dst_unused:UNUSED_PAD src0_sel:WORD_0 src1_sel:DWORD
	v_mul_u32_u24_sdwa v22, v21, v7 dst_sel:DWORD dst_unused:UNUSED_PAD src0_sel:WORD_0 src1_sel:DWORD
	v_add_nc_u32_e32 v39, 0x253, v3
	v_add_nc_u32_e32 v43, 0x2ca, v3
	v_mul_u32_u24_sdwa v48, v34, v7 dst_sel:DWORD dst_unused:UNUSED_PAD src0_sel:WORD_0 src1_sel:DWORD
	v_lshrrev_b32_e32 v51, 20, v46
	v_and_b32_e32 v8, 0xff, v3
	v_and_b32_e32 v38, 0xff, v37
	v_lshrrev_b32_e32 v35, 20, v22
	v_mul_u32_u24_sdwa v47, v36, v7 dst_sel:DWORD dst_unused:UNUSED_PAD src0_sel:WORD_0 src1_sel:DWORD
	v_mul_u32_u24_sdwa v49, v39, v7 dst_sel:DWORD dst_unused:UNUSED_PAD src0_sel:WORD_0 src1_sel:DWORD
	;; [unrolled: 1-line block ×3, first 2 shown]
	v_lshrrev_b32_e32 v53, 20, v48
	v_mul_lo_u16 v7, v51, 17
	v_mul_lo_u16 v40, 0xf1, v8
	;; [unrolled: 1-line block ×4, first 2 shown]
	v_lshrrev_b32_e32 v52, 20, v47
	v_lshrrev_b32_e32 v54, 20, v49
	v_mov_b32_e32 v31, 2
	v_sub_nc_u16 v7, v42, v7
	v_mul_lo_u16 v12, v53, 17
	v_lshrrev_b32_e32 v55, 20, v50
	v_lshrrev_b16 v45, 12, v41
	v_sub_nc_u16 v8, v21, v8
	v_mul_lo_u16 v9, v52, 17
	v_lshrrev_b16 v44, 12, v40
	v_mul_lo_u16 v10, v54, 17
	v_lshlrev_b32_sdwa v56, v31, v7 dst_sel:DWORD dst_unused:UNUSED_PAD src0_sel:DWORD src1_sel:WORD_0
	v_sub_nc_u16 v7, v34, v12
	v_mul_lo_u16 v11, v55, 17
	v_sub_nc_u16 v9, v36, v9
	v_lshlrev_b32_sdwa v61, v31, v8 dst_sel:DWORD dst_unused:UNUSED_PAD src0_sel:DWORD src1_sel:WORD_0
	v_mul_lo_u16 v8, v45, 17
	v_sub_nc_u16 v10, v39, v10
	v_lshlrev_b32_sdwa v62, v31, v7 dst_sel:DWORD dst_unused:UNUSED_PAD src0_sel:DWORD src1_sel:WORD_0
	;; [unrolled: 3-line block ×3, first 2 shown]
	v_sub_nc_u16 v8, v37, v8
	v_lshlrev_b32_sdwa v58, v31, v10 dst_sel:DWORD dst_unused:UNUSED_PAD src0_sel:DWORD src1_sel:WORD_0
	v_sub_nc_u16 v7, v3, v7
	v_lshlrev_b32_sdwa v59, v31, v11 dst_sel:DWORD dst_unused:UNUSED_PAD src0_sel:DWORD src1_sel:WORD_0
	s_load_dwordx2 s[2:3], s[2:3], 0x0
	s_waitcnt lgkmcnt(0)
	s_barrier
	buffer_gl0_inv
	s_clause 0x5
	global_load_dword v60, v56, s[12:13]
	global_load_dword v63, v57, s[12:13]
	;; [unrolled: 1-line block ×6, first 2 shown]
	v_lshlrev_b32_sdwa v68, v31, v8 dst_sel:DWORD dst_unused:UNUSED_PAD src0_sel:DWORD src1_sel:BYTE_0
	v_lshlrev_b32_sdwa v69, v31, v7 dst_sel:DWORD dst_unused:UNUSED_PAD src0_sel:DWORD src1_sel:BYTE_0
	s_clause 0x1
	global_load_dword v70, v68, s[12:13]
	global_load_dword v71, v69, s[12:13]
	v_add_nc_u32_e32 v72, 0xe00, v0
	v_add_nc_u32_e32 v73, 0x1200, v0
	;; [unrolled: 1-line block ×3, first 2 shown]
	ds_read2_b32 v[7:8], v0 offset1:119
	ds_read2_b32 v[9:10], v28 offset0:110 offset1:229
	ds_read2_b32 v[11:12], v29 offset0:92 offset1:211
	;; [unrolled: 1-line block ×7, first 2 shown]
	v_mov_b32_e32 v75, 0x88
	v_mul_u32_u24_e32 v53, 0x88, v53
	v_mul_u32_u24_e32 v52, 0x88, v52
	;; [unrolled: 1-line block ×6, first 2 shown]
	v_mul_u32_u24_sdwa v45, v45, v75 dst_sel:DWORD dst_unused:UNUSED_PAD src0_sel:WORD_0 src1_sel:DWORD
	v_add3_u32 v53, 0, v53, v62
	v_add3_u32 v52, 0, v52, v57
	;; [unrolled: 1-line block ×7, first 2 shown]
	v_lshrrev_b16 v40, 13, v40
	v_lshrrev_b32_e32 v47, 21, v47
	v_lshrrev_b32_e32 v49, 21, v49
	;; [unrolled: 1-line block ×6, first 2 shown]
	v_mul_lo_u16 v77, v40, 34
	v_lshrrev_b16 v41, 13, v41
	v_mul_lo_u16 v80, v47, 34
	v_mul_lo_u16 v81, v49, 34
	;; [unrolled: 1-line block ×6, first 2 shown]
	v_mul_u32_u24_sdwa v44, v44, v75 dst_sel:DWORD dst_unused:UNUSED_PAD src0_sel:WORD_0 src1_sel:DWORD
	v_sub_nc_u16 v75, v3, v77
	v_mul_lo_u16 v77, v41, 34
	v_sub_nc_u16 v36, v36, v80
	v_sub_nc_u16 v39, v39, v81
	;; [unrolled: 1-line block ×7, first 2 shown]
	v_add3_u32 v44, 0, v44, v69
	v_lshlrev_b32_sdwa v36, v31, v36 dst_sel:DWORD dst_unused:UNUSED_PAD src0_sel:DWORD src1_sel:WORD_0
	v_lshlrev_b32_sdwa v39, v31, v39 dst_sel:DWORD dst_unused:UNUSED_PAD src0_sel:DWORD src1_sel:WORD_0
	;; [unrolled: 1-line block ×6, first 2 shown]
	s_waitcnt vmcnt(0) lgkmcnt(0)
	s_barrier
	buffer_gl0_inv
	v_cmp_gt_u32_e64 s0, 34, v3
	v_pk_mul_f16 v59, v32, v63 op_sel:[0,1]
	v_pk_mul_f16 v56, v16, v60 op_sel:[0,1]
	;; [unrolled: 1-line block ×6, first 2 shown]
	v_pk_fma_f16 v68, v16, v60, v56 op_sel:[0,0,1] op_sel_hi:[1,1,0]
	v_pk_fma_f16 v16, v16, v60, v56 op_sel:[0,0,1] op_sel_hi:[1,0,0] neg_lo:[0,0,1] neg_hi:[0,0,1]
	v_pk_fma_f16 v56, v15, v65, v57 op_sel:[0,0,1] op_sel_hi:[1,1,0]
	v_pk_fma_f16 v15, v15, v65, v57 op_sel:[0,0,1] op_sel_hi:[1,0,0] neg_lo:[0,0,1] neg_hi:[0,0,1]
	;; [unrolled: 2-line block ×4, first 2 shown]
	v_pk_mul_f16 v62, v71, v17 op_sel:[0,1]
	v_pk_fma_f16 v58, v32, v63, v59 op_sel:[0,0,1] op_sel_hi:[1,1,0]
	v_pk_fma_f16 v32, v32, v63, v59 op_sel:[0,0,1] op_sel_hi:[1,0,0] neg_lo:[0,0,1] neg_hi:[0,0,1]
	v_pk_fma_f16 v59, v66, v20, v61 op_sel:[0,0,1] op_sel_hi:[1,1,0]
	v_pk_fma_f16 v20, v66, v20, v61 op_sel:[0,0,1] op_sel_hi:[1,0,0] neg_lo:[1,0,0] neg_hi:[1,0,0]
	v_pk_mul_f16 v61, v70, v18 op_sel:[0,1]
	v_bfi_b32 v33, 0xffff, v57, v33
	v_pk_fma_f16 v57, v71, v17, v62 op_sel:[0,0,1] op_sel_hi:[1,1,0]
	v_pk_fma_f16 v17, v71, v17, v62 op_sel:[0,0,1] op_sel_hi:[1,0,0] neg_lo:[1,0,0] neg_hi:[1,0,0]
	v_bfi_b32 v15, 0xffff, v56, v15
	v_pk_fma_f16 v56, v70, v18, v61 op_sel:[0,0,1] op_sel_hi:[1,1,0]
	v_pk_fma_f16 v18, v70, v18, v61 op_sel:[0,0,1] op_sel_hi:[1,0,0] neg_lo:[1,0,0] neg_hi:[1,0,0]
	v_bfi_b32 v19, 0xffff, v60, v19
	v_bfi_b32 v17, 0xffff, v57, v17
	;; [unrolled: 1-line block ×6, first 2 shown]
	v_pk_add_f16 v17, v7, v17 neg_lo:[0,1] neg_hi:[0,1]
	v_pk_add_f16 v19, v9, v19 neg_lo:[0,1] neg_hi:[0,1]
	;; [unrolled: 1-line block ×8, first 2 shown]
	v_pk_fma_f16 v7, v7, 2.0, v17 op_sel_hi:[1,0,1] neg_lo:[0,0,1] neg_hi:[0,0,1]
	v_pk_fma_f16 v8, v8, 2.0, v18 op_sel_hi:[1,0,1] neg_lo:[0,0,1] neg_hi:[0,0,1]
	;; [unrolled: 1-line block ×8, first 2 shown]
	ds_write2_b32 v44, v7, v17 offset1:17
	ds_write2_b32 v45, v8, v18 offset1:17
	;; [unrolled: 1-line block ×8, first 2 shown]
	v_lshlrev_b32_sdwa v15, v31, v77 dst_sel:DWORD dst_unused:UNUSED_PAD src0_sel:DWORD src1_sel:BYTE_0
	v_lshlrev_b32_sdwa v11, v31, v75 dst_sel:DWORD dst_unused:UNUSED_PAD src0_sel:DWORD src1_sel:BYTE_0
	s_waitcnt lgkmcnt(0)
	s_barrier
	buffer_gl0_inv
	s_clause 0x7
	global_load_dword v35, v39, s[12:13] offset:68
	global_load_dword v44, v43, s[12:13] offset:68
	global_load_dword v45, v42, s[12:13] offset:68
	global_load_dword v51, v36, s[12:13] offset:68
	global_load_dword v52, v34, s[12:13] offset:68
	global_load_dword v53, v78, s[12:13] offset:68
	global_load_dword v54, v15, s[12:13] offset:68
	global_load_dword v55, v11, s[12:13] offset:68
	v_mov_b32_e32 v9, 0x110
	v_mul_u32_u24_e32 v13, 0x110, v76
	ds_read2_b32 v[7:8], v24 offset0:130 offset1:249
	v_mul_u32_u24_e32 v16, 0x110, v48
	v_mul_u32_u24_e32 v17, 0x110, v47
	v_mul_u32_u24_sdwa v12, v40, v9 dst_sel:DWORD dst_unused:UNUSED_PAD src0_sel:WORD_0 src1_sel:DWORD
	v_mul_u32_u24_sdwa v32, v41, v9 dst_sel:DWORD dst_unused:UNUSED_PAD src0_sel:WORD_0 src1_sel:DWORD
	ds_read2_b32 v[9:10], v74 offset0:20 offset1:139
	v_add3_u32 v41, 0, v13, v78
	ds_read2_b32 v[13:14], v72 offset0:56 offset1:175
	v_add3_u32 v40, 0, v12, v11
	ds_read2_b32 v[11:12], v73 offset0:38 offset1:157
	v_mul_u32_u24_e32 v18, 0x110, v49
	v_mul_u32_u24_e32 v19, 0x110, v50
	;; [unrolled: 1-line block ×3, first 2 shown]
	v_add3_u32 v34, 0, v16, v34
	v_add3_u32 v36, 0, v17, v36
	;; [unrolled: 1-line block ×6, first 2 shown]
	ds_read2_b32 v[15:16], v0 offset1:119
	ds_read2_b32 v[17:18], v28 offset0:110 offset1:229
	ds_read2_b32 v[19:20], v29 offset0:92 offset1:211
	ds_read2_b32 v[32:33], v30 offset0:74 offset1:193
	v_add_nc_u32_e32 v56, 0x400, v0
	v_add_nc_u32_e32 v57, 0x800, v0
	s_waitcnt vmcnt(0) lgkmcnt(0)
	s_barrier
	buffer_gl0_inv
	v_pk_mul_f16 v47, v9, v51 op_sel:[0,1]
	v_pk_mul_f16 v30, v10, v35 op_sel:[0,1]
	;; [unrolled: 1-line block ×8, first 2 shown]
	v_pk_fma_f16 v59, v8, v45, v28 op_sel:[0,0,1] op_sel_hi:[1,1,0]
	v_pk_fma_f16 v8, v8, v45, v28 op_sel:[0,0,1] op_sel_hi:[1,0,0] neg_lo:[0,0,1] neg_hi:[0,0,1]
	v_pk_fma_f16 v28, v7, v44, v29 op_sel:[0,0,1] op_sel_hi:[1,1,0]
	v_pk_fma_f16 v7, v7, v44, v29 op_sel:[0,0,1] op_sel_hi:[1,0,0] neg_lo:[0,0,1] neg_hi:[0,0,1]
	v_pk_fma_f16 v29, v10, v35, v30 op_sel:[0,0,1] op_sel_hi:[1,1,0]
	v_pk_fma_f16 v10, v10, v35, v30 op_sel:[0,0,1] op_sel_hi:[1,0,0] neg_lo:[0,0,1] neg_hi:[0,0,1]
	v_pk_fma_f16 v30, v9, v51, v47 op_sel:[0,0,1] op_sel_hi:[1,1,0]
	v_pk_fma_f16 v9, v9, v51, v47 op_sel:[0,0,1] op_sel_hi:[1,0,0] neg_lo:[0,0,1] neg_hi:[0,0,1]
	v_pk_fma_f16 v35, v52, v12, v48 op_sel:[0,0,1] op_sel_hi:[1,1,0]
	v_pk_fma_f16 v12, v52, v12, v48 op_sel:[0,0,1] op_sel_hi:[1,0,0] neg_lo:[1,0,0] neg_hi:[1,0,0]
	v_pk_fma_f16 v47, v55, v13, v58 op_sel:[0,0,1] op_sel_hi:[1,1,0]
	v_pk_fma_f16 v13, v55, v13, v58 op_sel:[0,0,1] op_sel_hi:[1,0,0] neg_lo:[1,0,0] neg_hi:[1,0,0]
	v_pk_fma_f16 v45, v54, v14, v50 op_sel:[0,0,1] op_sel_hi:[1,1,0]
	v_pk_fma_f16 v14, v54, v14, v50 op_sel:[0,0,1] op_sel_hi:[1,0,0] neg_lo:[1,0,0] neg_hi:[1,0,0]
	v_pk_fma_f16 v44, v53, v11, v49 op_sel:[0,0,1] op_sel_hi:[1,1,0]
	v_pk_fma_f16 v11, v53, v11, v49 op_sel:[0,0,1] op_sel_hi:[1,0,0] neg_lo:[1,0,0] neg_hi:[1,0,0]
	v_bfi_b32 v8, 0xffff, v59, v8
	v_bfi_b32 v10, 0xffff, v29, v10
	;; [unrolled: 1-line block ×8, first 2 shown]
	v_pk_add_f16 v29, v33, v8 neg_lo:[0,1] neg_hi:[0,1]
	v_pk_add_f16 v8, v20, v10 neg_lo:[0,1] neg_hi:[0,1]
	;; [unrolled: 1-line block ×8, first 2 shown]
	v_pk_fma_f16 v15, v15, 2.0, v12 op_sel_hi:[1,0,1] neg_lo:[0,0,1] neg_hi:[0,0,1]
	v_pk_fma_f16 v16, v16, 2.0, v13 op_sel_hi:[1,0,1] neg_lo:[0,0,1] neg_hi:[0,0,1]
	;; [unrolled: 1-line block ×8, first 2 shown]
	ds_write2_b32 v40, v15, v12 offset1:34
	ds_write2_b32 v46, v16, v13 offset1:34
	;; [unrolled: 1-line block ×8, first 2 shown]
	s_waitcnt lgkmcnt(0)
	s_barrier
	buffer_gl0_inv
	ds_read2_b32 v[7:8], v0 offset1:119
	ds_read2_b32 v[11:12], v56 offset0:16 offset1:135
	ds_read2_b32 v[9:10], v57 offset0:32 offset1:151
	ds_read2_b32 v[13:14], v27 offset0:48 offset1:167
	ds_read2_b32 v[15:16], v26 offset0:64 offset1:183
	ds_read2_b32 v[17:18], v25 offset0:80 offset1:199
	ds_read2_b32 v[19:20], v24 offset0:96 offset1:215
	v_lshrrev_b32_e32 v24, 16, v28
	v_lshrrev_b32_e32 v25, 16, v29
                                        ; implicit-def: $vgpr30
                                        ; implicit-def: $vgpr26
                                        ; implicit-def: $vgpr36
                                        ; implicit-def: $vgpr34
                                        ; implicit-def: $vgpr33
                                        ; implicit-def: $vgpr32
                                        ; implicit-def: $vgpr35
                                        ; implicit-def: $vgpr27
	s_and_saveexec_b32 s1, s0
	s_cbranch_execz .LBB0_17
; %bb.16:
	ds_read_b32 v28, v0 offset:952
	ds_read_b32 v29, v0 offset:2040
	;; [unrolled: 1-line block ×7, first 2 shown]
	s_waitcnt lgkmcnt(6)
	v_lshrrev_b32_e32 v24, 16, v28
	s_waitcnt lgkmcnt(5)
	v_lshrrev_b32_e32 v25, 16, v29
	;; [unrolled: 2-line block ×7, first 2 shown]
.LBB0_17:
	s_or_b32 exec_lo, exec_lo, s1
	v_add_nc_u32_e32 v39, 0xffffffbc, v3
	v_cmp_gt_u32_e64 s1, 0x44, v3
	v_mul_lo_u16 v40, 0x79, v38
	v_mov_b32_e32 v43, 6
	v_mov_b32_e32 v59, 0x770
	s_waitcnt lgkmcnt(5)
	v_lshrrev_b32_e32 v56, 16, v11
	v_cndmask_b32_e64 v49, v39, v3, s1
	v_lshrrev_b16 v50, 13, v40
	v_mov_b32_e32 v39, 0
	s_waitcnt lgkmcnt(4)
	v_lshrrev_b32_e32 v57, 16, v9
	s_waitcnt lgkmcnt(1)
	v_lshrrev_b32_e32 v62, 16, v17
	v_mul_i32_i24_e32 v38, 6, v49
	v_mul_lo_u16 v40, 0x44, v50
	v_lshlrev_b32_e32 v49, 2, v49
	v_lshrrev_b32_e32 v54, 16, v18
	s_waitcnt lgkmcnt(0)
	v_lshrrev_b32_e32 v55, 16, v20
	v_lshlrev_b64 v[38:39], 2, v[38:39]
	v_sub_nc_u16 v51, v37, v40
	v_lshrrev_b32_e32 v58, 16, v13
	v_lshrrev_b32_e32 v61, 16, v15
	v_mul_u32_u24_sdwa v50, v50, v59 dst_sel:DWORD dst_unused:UNUSED_PAD src0_sel:WORD_0 src1_sel:DWORD
	v_lshrrev_b32_e32 v59, 16, v12
	v_add_co_u32 v41, s1, s12, v38
	v_mul_u32_u24_sdwa v43, v51, v43 dst_sel:DWORD dst_unused:UNUSED_PAD src0_sel:BYTE_0 src1_sel:DWORD
	v_add_co_ci_u32_e64 v42, s1, s13, v39, s1
	v_cmp_lt_u32_e64 s1, 0x43, v3
	v_lshlrev_b32_sdwa v31, v31, v51 dst_sel:DWORD dst_unused:UNUSED_PAD src0_sel:DWORD src1_sel:BYTE_0
	v_lshlrev_b32_e32 v47, 2, v43
	s_clause 0x3
	global_load_dwordx4 v[37:40], v[41:42], off offset:204
	global_load_dwordx2 v[45:46], v[41:42], off offset:220
	global_load_dwordx4 v[41:44], v47, s[12:13] offset:204
	global_load_dwordx2 v[47:48], v47, s[12:13] offset:220
	v_cndmask_b32_e64 v60, 0, 0x770, s1
	v_lshrrev_b32_e32 v51, 16, v19
	v_lshrrev_b32_e32 v52, 16, v14
	;; [unrolled: 1-line block ×3, first 2 shown]
	v_add3_u32 v31, 0, v50, v31
	v_add3_u32 v49, 0, v60, v49
	v_lshrrev_b32_e32 v60, 16, v10
	s_waitcnt vmcnt(0)
	s_barrier
	buffer_gl0_inv
	v_add_nc_u32_e32 v50, 0x400, v49
	v_add_nc_u32_e32 v63, 0x400, v31
	v_mul_f16_sdwa v64, v37, v56 dst_sel:DWORD dst_unused:UNUSED_PAD src0_sel:WORD_1 src1_sel:DWORD
	v_mul_f16_sdwa v65, v37, v11 dst_sel:DWORD dst_unused:UNUSED_PAD src0_sel:WORD_1 src1_sel:DWORD
	;; [unrolled: 1-line block ×16, first 2 shown]
	v_mul_f16_sdwa v84, v54, v47 dst_sel:DWORD dst_unused:UNUSED_PAD src0_sel:DWORD src1_sel:WORD_1
	v_mul_f16_sdwa v85, v18, v47 dst_sel:DWORD dst_unused:UNUSED_PAD src0_sel:DWORD src1_sel:WORD_1
	v_mul_f16_sdwa v86, v55, v48 dst_sel:DWORD dst_unused:UNUSED_PAD src0_sel:DWORD src1_sel:WORD_1
	v_mul_f16_sdwa v87, v20, v48 dst_sel:DWORD dst_unused:UNUSED_PAD src0_sel:DWORD src1_sel:WORD_1
	v_mul_f16_sdwa v80, v52, v43 dst_sel:DWORD dst_unused:UNUSED_PAD src0_sel:DWORD src1_sel:WORD_1
	v_mul_f16_sdwa v81, v14, v43 dst_sel:DWORD dst_unused:UNUSED_PAD src0_sel:DWORD src1_sel:WORD_1
	v_mul_f16_sdwa v82, v53, v44 dst_sel:DWORD dst_unused:UNUSED_PAD src0_sel:DWORD src1_sel:WORD_1
	v_mul_f16_sdwa v83, v16, v44 dst_sel:DWORD dst_unused:UNUSED_PAD src0_sel:DWORD src1_sel:WORD_1
	v_fmac_f16_e32 v64, v37, v11
	v_fma_f16 v11, v37, v56, -v65
	v_fmac_f16_e32 v66, v38, v9
	v_fma_f16 v9, v38, v57, -v67
	v_fmac_f16_e32 v72, v45, v17
	v_fma_f16 v17, v45, v62, -v73
	v_fmac_f16_e32 v74, v46, v19
	v_fma_f16 v19, v46, v51, -v75
	v_fmac_f16_e32 v68, v39, v13
	v_fma_f16 v13, v39, v58, -v69
	v_fmac_f16_e32 v70, v40, v15
	v_fma_f16 v15, v40, v61, -v71
	v_fmac_f16_e32 v76, v41, v12
	v_fma_f16 v12, v41, v59, -v77
	v_fmac_f16_e32 v78, v42, v10
	v_fma_f16 v10, v42, v60, -v79
	v_fmac_f16_e32 v84, v18, v47
	v_fma_f16 v18, v54, v47, -v85
	v_fmac_f16_e32 v86, v20, v48
	v_fma_f16 v20, v55, v48, -v87
	v_fmac_f16_e32 v80, v14, v43
	v_fma_f16 v14, v52, v43, -v81
	v_fmac_f16_e32 v82, v16, v44
	v_fma_f16 v16, v53, v44, -v83
	v_add_f16_e32 v37, v64, v74
	v_add_f16_e32 v38, v11, v19
	v_sub_f16_e32 v11, v11, v19
	v_add_f16_e32 v19, v66, v72
	v_add_f16_e32 v40, v9, v17
	v_sub_f16_e32 v41, v66, v72
	v_sub_f16_e32 v9, v9, v17
	v_add_f16_e32 v17, v68, v70
	v_add_f16_e32 v42, v13, v15
	v_sub_f16_e32 v43, v70, v68
	;; [unrolled: 4-line block ×3, first 2 shown]
	v_add_f16_e32 v20, v78, v84
	v_add_f16_e32 v46, v10, v18
	v_sub_f16_e32 v10, v10, v18
	v_add_f16_e32 v18, v80, v82
	v_add_f16_e32 v48, v14, v16
	v_sub_f16_e32 v14, v16, v14
	;; [unrolled: 3-line block ×3, first 2 shown]
	v_sub_f16_e32 v47, v78, v84
	v_sub_f16_e32 v51, v82, v80
	;; [unrolled: 1-line block ×8, first 2 shown]
	v_add_f16_e32 v55, v43, v41
	v_add_f16_e32 v56, v13, v9
	v_sub_f16_e32 v57, v43, v41
	v_sub_f16_e32 v58, v13, v9
	;; [unrolled: 1-line block ×3, first 2 shown]
	v_add_f16_e32 v59, v20, v15
	v_add_f16_e32 v60, v46, v44
	v_sub_f16_e32 v45, v76, v86
	v_sub_f16_e32 v61, v20, v15
	;; [unrolled: 1-line block ×3, first 2 shown]
	v_add_f16_e32 v65, v14, v10
	v_sub_f16_e32 v67, v14, v10
	v_sub_f16_e32 v10, v10, v12
	v_add_f16_e32 v16, v17, v16
	v_add_f16_e32 v17, v42, v52
	v_sub_f16_e32 v41, v41, v39
	v_sub_f16_e32 v43, v39, v43
	;; [unrolled: 1-line block ×7, first 2 shown]
	v_add_f16_e32 v64, v51, v47
	v_sub_f16_e32 v66, v51, v47
	v_add_f16_e32 v39, v55, v39
	v_add_f16_e32 v11, v56, v11
	v_mul_f16_e32 v37, 0x3a52, v37
	v_mul_f16_e32 v38, 0x3a52, v38
	;; [unrolled: 1-line block ×7, first 2 shown]
	v_add_f16_e32 v18, v18, v59
	v_add_f16_e32 v48, v48, v60
	v_sub_f16_e32 v14, v12, v14
	v_sub_f16_e32 v47, v47, v45
	v_add_f16_e32 v12, v65, v12
	v_mul_f16_e32 v59, 0x2b26, v20
	v_mul_f16_e32 v65, 0x3846, v67
	;; [unrolled: 1-line block ×3, first 2 shown]
	v_add_f16_e32 v68, v16, v7
	v_add_f16_sdwa v7, v17, v7 dst_sel:DWORD dst_unused:UNUSED_PAD src0_sel:DWORD src1_sel:WORD_1
	v_mul_f16_e32 v57, 0xbb00, v41
	v_sub_f16_e32 v51, v45, v51
	v_add_f16_e32 v45, v64, v45
	v_mul_f16_e32 v15, 0x3a52, v15
	v_mul_f16_e32 v44, 0x3a52, v44
	;; [unrolled: 1-line block ×3, first 2 shown]
	v_fmamk_f16 v19, v19, 0x2b26, v37
	v_fmamk_f16 v40, v40, 0x2b26, v38
	v_fma_f16 v42, v53, 0x39e0, -v42
	v_fma_f16 v52, v54, 0x39e0, -v52
	;; [unrolled: 1-line block ×4, first 2 shown]
	v_fmamk_f16 v53, v43, 0xb574, v55
	v_fmamk_f16 v54, v13, 0xb574, v56
	v_fma_f16 v41, v41, 0xbb00, -v55
	v_fma_f16 v9, v9, 0xbb00, -v56
	;; [unrolled: 1-line block ×3, first 2 shown]
	v_add_f16_e32 v55, v18, v8
	v_add_f16_sdwa v8, v48, v8 dst_sel:DWORD dst_unused:UNUSED_PAD src0_sel:DWORD src1_sel:WORD_1
	v_mul_f16_e32 v60, 0x2b26, v46
	v_mul_f16_e32 v66, 0xbb00, v47
	v_fma_f16 v56, v61, 0x39e0, -v59
	v_fmamk_f16 v59, v14, 0xb574, v65
	v_fma_f16 v10, v10, 0xbb00, -v65
	v_fma_f16 v14, v14, 0x3574, -v67
	v_fmamk_f16 v16, v16, 0xbcab, v68
	v_fmamk_f16 v17, v17, 0xbcab, v7
	v_fma_f16 v43, v43, 0x3574, -v57
	v_fmamk_f16 v20, v20, 0x2b26, v15
	v_fmamk_f16 v46, v46, 0x2b26, v44
	;; [unrolled: 1-line block ×3, first 2 shown]
	v_fmac_f16_e32 v54, 0xb70e, v11
	v_fmac_f16_e32 v9, 0xb70e, v11
	;; [unrolled: 1-line block ×3, first 2 shown]
	v_fmamk_f16 v11, v18, 0xbcab, v55
	v_fmamk_f16 v18, v48, 0xbcab, v8
	v_fma_f16 v57, v62, 0x39e0, -v60
	v_fma_f16 v15, v61, 0xb9e0, -v15
	;; [unrolled: 1-line block ×5, first 2 shown]
	v_fmac_f16_e32 v53, 0xb70e, v39
	v_fmac_f16_e32 v59, 0xb70e, v12
	;; [unrolled: 1-line block ×4, first 2 shown]
	v_add_f16_e32 v12, v19, v16
	v_add_f16_e32 v19, v40, v17
	v_fmac_f16_e32 v41, 0xb70e, v39
	v_fmac_f16_e32 v43, 0xb70e, v39
	v_add_f16_e32 v39, v42, v16
	v_add_f16_e32 v40, v52, v17
	;; [unrolled: 1-line block ×4, first 2 shown]
	v_fmac_f16_e32 v58, 0xb70e, v45
	v_add_f16_e32 v20, v20, v11
	v_add_f16_e32 v37, v46, v18
	v_fmac_f16_e32 v47, 0xb70e, v45
	v_fmac_f16_e32 v51, 0xb70e, v45
	v_add_f16_e32 v38, v56, v11
	v_add_f16_e32 v42, v57, v18
	;; [unrolled: 1-line block ×5, first 2 shown]
	v_sub_f16_e32 v44, v19, v53
	v_add_f16_e32 v45, v13, v16
	v_sub_f16_e32 v46, v17, v43
	v_sub_f16_e32 v48, v39, v9
	v_add_f16_e32 v52, v41, v40
	v_add_f16_e32 v9, v9, v39
	v_sub_f16_e32 v39, v40, v41
	v_sub_f16_e32 v13, v16, v13
	v_add_f16_e32 v16, v43, v17
	v_sub_f16_e32 v12, v12, v54
	v_add_f16_e32 v17, v53, v19
	v_add_f16_e32 v19, v59, v20
	v_sub_f16_e32 v40, v37, v58
	v_pack_b32_f16 v7, v68, v7
	v_add_f16_e32 v41, v14, v11
	v_sub_f16_e32 v43, v15, v51
	v_sub_f16_e32 v53, v38, v10
	v_add_f16_e32 v54, v47, v42
	v_add_f16_e32 v10, v10, v38
	v_sub_f16_e32 v38, v42, v47
	v_sub_f16_e32 v11, v11, v14
	v_add_f16_e32 v14, v51, v15
	v_sub_f16_e32 v15, v20, v59
	v_add_f16_e32 v20, v58, v37
	v_pack_b32_f16 v18, v18, v44
	v_pack_b32_f16 v37, v45, v46
	;; [unrolled: 1-line block ×13, first 2 shown]
	ds_write2_b32 v49, v7, v18 offset1:68
	ds_write2_b32 v49, v37, v42 offset0:136 offset1:204
	ds_write2_b32 v50, v9, v13 offset0:16 offset1:84
	ds_write_b32 v49, v12 offset:1632
	ds_write2_b32 v31, v8, v16 offset1:68
	ds_write2_b32 v31, v17, v19 offset0:136 offset1:204
	ds_write2_b32 v63, v10, v11 offset0:16 offset1:84
	ds_write_b32 v31, v14 offset:1632
	s_and_saveexec_b32 s1, s0
	s_cbranch_execz .LBB0_19
; %bb.18:
	v_lshrrev_b32_e32 v7, 22, v22
	v_mul_lo_u16 v7, 0x44, v7
	v_sub_nc_u16 v7, v21, v7
	v_and_b32_e32 v13, 0xffff, v7
	v_mul_u32_u24_e32 v7, 6, v13
	v_lshl_add_u32 v13, v13, 2, 0
	v_lshlrev_b32_e32 v11, 2, v7
	v_add_nc_u32_e32 v14, 0x1400, v13
	v_add_nc_u32_e32 v15, 0x1800, v13
	s_clause 0x1
	global_load_dwordx4 v[7:10], v11, s[12:13] offset:204
	global_load_dwordx2 v[11:12], v11, s[12:13] offset:220
	s_waitcnt vmcnt(1)
	v_mul_f16_sdwa v16, v25, v7 dst_sel:DWORD dst_unused:UNUSED_PAD src0_sel:DWORD src1_sel:WORD_1
	s_waitcnt vmcnt(0)
	v_mul_f16_sdwa v17, v36, v12 dst_sel:DWORD dst_unused:UNUSED_PAD src0_sel:DWORD src1_sel:WORD_1
	v_mul_f16_sdwa v18, v30, v10 dst_sel:DWORD dst_unused:UNUSED_PAD src0_sel:DWORD src1_sel:WORD_1
	;; [unrolled: 1-line block ×11, first 2 shown]
	v_fmac_f16_e32 v16, v29, v7
	v_fmac_f16_e32 v17, v34, v12
	;; [unrolled: 1-line block ×6, first 2 shown]
	v_fma_f16 v4, v36, v12, -v22
	v_fma_f16 v7, v25, v7, -v31
	;; [unrolled: 1-line block ×6, first 2 shown]
	v_sub_f16_e32 v12, v16, v17
	v_sub_f16_e32 v22, v18, v19
	;; [unrolled: 1-line block ×3, first 2 shown]
	v_add_f16_e32 v25, v7, v4
	v_add_f16_e32 v26, v9, v10
	;; [unrolled: 1-line block ×6, first 2 shown]
	v_sub_f16_e32 v4, v7, v4
	v_sub_f16_e32 v7, v10, v9
	v_sub_f16_e32 v8, v8, v11
	v_add_f16_e32 v11, v22, v23
	v_sub_f16_e32 v19, v25, v26
	v_add_f16_e32 v21, v27, v25
	v_add_f16_e32 v30, v18, v16
	v_sub_f16_e32 v9, v12, v22
	v_sub_f16_e32 v10, v22, v23
	;; [unrolled: 1-line block ×6, first 2 shown]
	v_add_f16_e32 v7, v7, v8
	v_sub_f16_e32 v23, v23, v12
	v_add_f16_e32 v11, v11, v12
	v_mul_f16_e32 v12, 0x3a52, v19
	v_add_f16_e32 v19, v26, v21
	v_add_f16_e32 v17, v17, v30
	v_sub_f16_e32 v20, v26, v27
	v_sub_f16_e32 v8, v8, v4
	;; [unrolled: 1-line block ×3, first 2 shown]
	v_mul_f16_e32 v10, 0x3846, v10
	v_mul_f16_e32 v21, 0x3a52, v22
	;; [unrolled: 1-line block ×3, first 2 shown]
	v_add_f16_e32 v4, v7, v4
	v_mul_f16_e32 v7, 0xbb00, v23
	v_add_f16_e32 v24, v24, v19
	v_add_f16_e32 v28, v28, v17
	v_sub_f16_e32 v16, v18, v16
	v_mul_f16_e32 v18, 0x2b26, v20
	v_mul_f16_e32 v22, 0x2b26, v29
	;; [unrolled: 1-line block ×3, first 2 shown]
	v_fmamk_f16 v30, v9, 0xb574, v10
	v_fmamk_f16 v20, v20, 0x2b26, v12
	;; [unrolled: 1-line block ×4, first 2 shown]
	v_fma_f16 v7, v9, 0x3574, -v7
	v_fma_f16 v9, v25, 0xb9e0, -v12
	v_fma_f16 v10, v23, 0xbb00, -v10
	v_fmamk_f16 v19, v19, 0xbcab, v24
	v_fmamk_f16 v17, v17, 0xbcab, v28
	v_fma_f16 v12, v16, 0xb9e0, -v21
	v_fma_f16 v21, v31, 0x3574, -v27
	;; [unrolled: 1-line block ×5, first 2 shown]
	v_fmac_f16_e32 v30, 0xb70e, v11
	v_fmac_f16_e32 v32, 0xb70e, v4
	;; [unrolled: 1-line block ×4, first 2 shown]
	v_add_f16_e32 v11, v20, v19
	v_add_f16_e32 v20, v29, v17
	;; [unrolled: 1-line block ×3, first 2 shown]
	v_fmac_f16_e32 v21, 0xb70e, v4
	v_fmac_f16_e32 v8, 0xb70e, v4
	v_add_f16_e32 v12, v12, v17
	v_add_f16_e32 v18, v18, v19
	v_add_f16_e32 v16, v16, v17
	v_add_f16_e32 v17, v30, v11
	v_add_f16_e32 v22, v7, v9
	v_sub_f16_e32 v7, v9, v7
	v_sub_f16_e32 v9, v11, v30
	v_add_f16_e32 v11, v32, v20
	v_sub_f16_e32 v19, v20, v32
	v_sub_f16_e32 v23, v18, v10
	v_add_f16_e32 v10, v10, v18
	v_add_f16_e32 v18, v21, v12
	v_sub_f16_e32 v20, v16, v8
	v_add_f16_e32 v8, v8, v16
	v_sub_f16_e32 v12, v12, v21
	v_pack_b32_f16 v4, v28, v24
	v_pack_b32_f16 v9, v11, v9
	v_pack_b32_f16 v7, v18, v7
	v_pack_b32_f16 v10, v20, v10
	v_pack_b32_f16 v8, v8, v23
	v_pack_b32_f16 v11, v12, v22
	v_pack_b32_f16 v12, v19, v17
	ds_write2_b32 v14, v4, v9 offset0:148 offset1:216
	ds_write2_b32 v15, v7, v10 offset0:28 offset1:96
	;; [unrolled: 1-line block ×3, first 2 shown]
	ds_write_b32 v13, v12 offset:7344
.LBB0_19:
	s_or_b32 exec_lo, exec_lo, s1
	v_mul_u32_u24_e32 v4, 3, v3
	s_waitcnt lgkmcnt(0)
	s_barrier
	buffer_gl0_inv
	v_add_nc_u32_e32 v35, 0xe00, v0
	v_lshlrev_b32_e32 v4, 2, v4
	v_add_nc_u32_e32 v36, 0x1600, v0
	v_add_nc_u32_e32 v40, 0x200, v0
	;; [unrolled: 1-line block ×4, first 2 shown]
	v_add_co_u32 v13, s0, s12, v4
	v_add_co_ci_u32_e64 v14, null, s13, 0, s0
	global_load_dwordx3 v[7:9], v4, s[12:13] offset:1836
	v_add_co_u32 v10, s0, 0x800, v13
	v_add_co_ci_u32_e64 v11, s0, 0, v14, s0
	v_add_co_u32 v16, s0, 0x1000, v13
	v_add_co_ci_u32_e64 v17, s0, 0, v14, s0
	global_load_dwordx3 v[10:12], v[10:11], off offset:1216
	v_add_nc_u32_e32 v4, 0x600, v0
	s_clause 0x1
	global_load_dwordx3 v[13:15], v[16:17], off offset:596
	global_load_dwordx3 v[16:18], v[16:17], off offset:2024
	v_add_nc_u32_e32 v39, 0x1800, v0
	ds_read2_b32 v[19:20], v0 offset1:119
	ds_read2_b32 v[21:22], v35 offset0:56 offset1:175
	ds_read2_b32 v[23:24], v36 offset0:20 offset1:139
	;; [unrolled: 1-line block ×7, first 2 shown]
	s_waitcnt vmcnt(0) lgkmcnt(0)
	s_barrier
	buffer_gl0_inv
	s_add_u32 s1, s12, 0x1d7c
	s_addc_u32 s4, s13, 0
	s_mov_b32 s5, exec_lo
	v_lshrrev_b32_e32 v52, 16, v21
	v_lshrrev_b32_e32 v53, 16, v23
	;; [unrolled: 1-line block ×16, first 2 shown]
	v_mul_f16_sdwa v57, v7, v51 dst_sel:DWORD dst_unused:UNUSED_PAD src0_sel:WORD_1 src1_sel:DWORD
	v_mul_f16_sdwa v58, v7, v31 dst_sel:DWORD dst_unused:UNUSED_PAD src0_sel:WORD_1 src1_sel:DWORD
	;; [unrolled: 1-line block ×6, first 2 shown]
	v_fmac_f16_e32 v57, v7, v31
	v_fma_f16 v7, v7, v51, -v58
	v_fmac_f16_e32 v59, v8, v21
	v_fma_f16 v8, v8, v52, -v60
	;; [unrolled: 2-line block ×3, first 2 shown]
	v_mul_f16_sdwa v21, v10, v54 dst_sel:DWORD dst_unused:UNUSED_PAD src0_sel:WORD_1 src1_sel:DWORD
	v_mul_f16_sdwa v23, v10, v32 dst_sel:DWORD dst_unused:UNUSED_PAD src0_sel:WORD_1 src1_sel:DWORD
	v_mul_f16_sdwa v31, v43, v11 dst_sel:DWORD dst_unused:UNUSED_PAD src0_sel:DWORD src1_sel:WORD_1
	v_mul_f16_sdwa v51, v22, v11 dst_sel:DWORD dst_unused:UNUSED_PAD src0_sel:DWORD src1_sel:WORD_1
	;; [unrolled: 1-line block ×16, first 2 shown]
	v_sub_f16_e32 v59, v19, v59
	v_sub_f16_e32 v8, v41, v8
	v_sub_f16_e32 v61, v57, v61
	v_sub_f16_e32 v9, v7, v9
	v_fmac_f16_e32 v21, v10, v32
	v_fma_f16 v10, v10, v54, -v23
	v_fmac_f16_e32 v31, v22, v11
	v_fma_f16 v11, v43, v11, -v51
	;; [unrolled: 2-line block ×9, first 2 shown]
	v_fma_f16 v19, v19, 2.0, -v59
	v_fma_f16 v22, v41, 2.0, -v8
	;; [unrolled: 1-line block ×4, first 2 shown]
	v_add_f16_e32 v9, v59, v9
	v_sub_f16_e32 v24, v8, v61
	v_sub_f16_e32 v26, v20, v31
	;; [unrolled: 1-line block ×15, first 2 shown]
	v_fma_f16 v25, v59, 2.0, -v9
	v_fma_f16 v8, v8, 2.0, -v24
	v_pack_b32_f16 v9, v9, v24
	v_fma_f16 v20, v20, 2.0, -v26
	v_fma_f16 v24, v42, 2.0, -v11
	;; [unrolled: 1-line block ×4, first 2 shown]
	v_add_f16_e32 v12, v26, v12
	v_sub_f16_e32 v27, v11, v27
	v_fma_f16 v32, v33, 2.0, -v28
	v_fma_f16 v33, v55, 2.0, -v14
	;; [unrolled: 1-line block ×4, first 2 shown]
	v_add_f16_e32 v15, v28, v15
	v_fma_f16 v34, v34, 2.0, -v30
	v_fma_f16 v42, v56, 2.0, -v17
	;; [unrolled: 1-line block ×4, first 2 shown]
	v_sub_f16_e32 v29, v14, v29
	v_add_f16_e32 v18, v30, v18
	v_sub_f16_e32 v31, v17, v31
	v_fma_f16 v19, v19, 2.0, -v23
	v_fma_f16 v22, v22, 2.0, -v7
	v_sub_f16_e32 v21, v20, v21
	v_sub_f16_e32 v10, v24, v10
	v_pack_b32_f16 v8, v25, v8
	v_pack_b32_f16 v7, v23, v7
	v_fma_f16 v23, v26, 2.0, -v12
	v_fma_f16 v11, v11, 2.0, -v27
	v_sub_f16_e32 v25, v32, v41
	v_sub_f16_e32 v13, v33, v13
	v_fma_f16 v26, v28, 2.0, -v15
	v_sub_f16_e32 v28, v34, v43
	v_sub_f16_e32 v16, v42, v16
	v_fma_f16 v14, v14, 2.0, -v29
	v_fma_f16 v30, v30, 2.0, -v18
	;; [unrolled: 1-line block ×3, first 2 shown]
	v_pack_b32_f16 v12, v12, v27
	v_pack_b32_f16 v19, v19, v22
	;; [unrolled: 1-line block ×4, first 2 shown]
	v_fma_f16 v20, v20, 2.0, -v21
	v_fma_f16 v22, v24, 2.0, -v10
	;; [unrolled: 1-line block ×6, first 2 shown]
	v_pack_b32_f16 v11, v23, v11
	v_pack_b32_f16 v10, v21, v10
	ds_write2_b32 v36, v9, v12 offset0:20 offset1:139
	v_pack_b32_f16 v9, v26, v14
	v_pack_b32_f16 v12, v25, v13
	;; [unrolled: 1-line block ×4, first 2 shown]
	ds_write2_b32 v39, v15, v18 offset0:130 offset1:249
	v_pack_b32_f16 v15, v20, v22
	ds_write2_b32 v4, v8, v11 offset0:92 offset1:211
	v_pack_b32_f16 v4, v24, v27
	v_pack_b32_f16 v8, v29, v31
	ds_write2_b32 v35, v7, v10 offset0:56 offset1:175
	ds_write2_b32 v37, v9, v13 offset0:74 offset1:193
	;; [unrolled: 1-line block ×3, first 2 shown]
	ds_write2_b32 v0, v19, v15 offset1:119
	ds_write2_b32 v40, v4, v8 offset0:110 offset1:229
	s_waitcnt lgkmcnt(0)
	s_barrier
	buffer_gl0_inv
	ds_read_b32 v13, v0
	v_lshlrev_b32_e32 v4, 2, v3
                                        ; implicit-def: $vgpr12
                                        ; implicit-def: $vgpr11
                                        ; implicit-def: $vgpr10
                                        ; implicit-def: $vgpr7_vgpr8
	v_sub_nc_u32_e32 v9, 0, v4
	v_cmpx_ne_u32_e32 0, v3
	s_xor_b32 s5, exec_lo, s5
	s_cbranch_execz .LBB0_21
; %bb.20:
	v_mov_b32_e32 v4, 0
	v_lshlrev_b64 v[7:8], 2, v[3:4]
	v_add_co_u32 v7, s0, s1, v7
	v_add_co_ci_u32_e64 v8, s0, s4, v8, s0
	global_load_dword v7, v[7:8], off
	ds_read_b32 v8, v9 offset:7616
	s_waitcnt lgkmcnt(0)
	v_pk_add_f16 v10, v13, v8 neg_lo:[0,1] neg_hi:[0,1]
	v_pk_add_f16 v8, v8, v13
                                        ; implicit-def: $vgpr13
	v_bfi_b32 v11, 0xffff, v10, v8
	v_bfi_b32 v8, 0xffff, v8, v10
	v_pk_mul_f16 v11, v11, 0.5 op_sel_hi:[1,0]
	v_pk_mul_f16 v12, v8, 0.5 op_sel_hi:[1,0]
	s_waitcnt vmcnt(0)
	v_pk_mul_f16 v10, v7, v11 op_sel:[1,0]
	v_pk_mul_f16 v7, v7, v11 op_sel_hi:[0,1]
	v_pk_fma_f16 v8, v8, 0.5, v10 op_sel_hi:[1,0,1]
	v_sub_f16_e32 v11, v12, v10
	v_sub_f16_sdwa v10, v10, v12 dst_sel:DWORD dst_unused:UNUSED_PAD src0_sel:WORD_1 src1_sel:WORD_1
	v_pk_add_f16 v12, v8, v7 op_sel:[0,1] op_sel_hi:[1,0]
	v_pk_add_f16 v8, v8, v7 op_sel:[0,1] op_sel_hi:[1,0] neg_lo:[0,1] neg_hi:[0,1]
	v_sub_f16_sdwa v11, v11, v7 dst_sel:DWORD dst_unused:UNUSED_PAD src0_sel:DWORD src1_sel:WORD_1
	v_sub_f16_e32 v10, v10, v7
	v_bfi_b32 v12, 0xffff, v12, v8
	v_mov_b32_e32 v8, v4
	v_mov_b32_e32 v7, v3
.LBB0_21:
	s_andn2_saveexec_b32 s0, s5
	s_cbranch_execz .LBB0_23
; %bb.22:
	v_mov_b32_e32 v10, 0
	s_waitcnt lgkmcnt(0)
	v_alignbit_b32 v7, s0, v13, 16
	v_sub_f16_sdwa v11, v13, v13 dst_sel:DWORD dst_unused:UNUSED_PAD src0_sel:DWORD src1_sel:WORD_1
	ds_read_u16 v4, v10 offset:3810
	v_pk_add_f16 v12, v7, v13
	v_mov_b32_e32 v7, 0
	v_mov_b32_e32 v8, 0
	v_pack_b32_f16 v12, v12, 0
	s_waitcnt lgkmcnt(0)
	v_xor_b32_e32 v4, 0x8000, v4
	ds_write_b16 v10, v4 offset:3810
.LBB0_23:
	s_or_b32 exec_lo, exec_lo, s0
	v_lshlrev_b64 v[7:8], 2, v[7:8]
	v_add_co_u32 v7, s0, s1, v7
	v_add_co_ci_u32_e64 v8, s0, s4, v8, s0
	global_load_dword v4, v[7:8], off offset:476
	s_waitcnt lgkmcnt(0)
	s_clause 0x2
	global_load_dword v13, v[7:8], off offset:952
	global_load_dword v14, v[7:8], off offset:1428
	;; [unrolled: 1-line block ×3, first 2 shown]
	v_add_co_u32 v7, s0, 0x800, v7
	v_add_co_ci_u32_e64 v8, s0, 0, v8, s0
	global_load_dword v16, v[7:8], off offset:332
	ds_write_b16 v9, v10 offset:7618
	ds_write_b32 v0, v12
	ds_write_b16 v9, v11 offset:7616
	ds_read_b32 v10, v0 offset:476
	ds_read_b32 v11, v9 offset:7140
	s_clause 0x1
	global_load_dword v12, v[7:8], off offset:808
	global_load_dword v7, v[7:8], off offset:1284
	s_waitcnt lgkmcnt(0)
	v_pk_add_f16 v17, v10, v11 neg_lo:[0,1] neg_hi:[0,1]
	v_pk_add_f16 v10, v10, v11
	v_bfi_b32 v11, 0xffff, v17, v10
	v_bfi_b32 v10, 0xffff, v10, v17
	v_pk_mul_f16 v11, v11, 0.5 op_sel_hi:[1,0]
	v_pk_mul_f16 v17, v10, 0.5 op_sel_hi:[1,0]
	s_waitcnt vmcnt(6)
	v_pk_mul_f16 v8, v4, v11 op_sel:[1,0]
	v_pk_mul_f16 v4, v4, v11 op_sel_hi:[0,1]
	v_pk_fma_f16 v10, v10, 0.5, v8 op_sel_hi:[1,0,1]
	v_sub_f16_sdwa v11, v8, v17 dst_sel:DWORD dst_unused:UNUSED_PAD src0_sel:WORD_1 src1_sel:WORD_1
	v_sub_f16_e32 v8, v17, v8
	v_pk_add_f16 v18, v10, v4 op_sel:[0,1] op_sel_hi:[1,0]
	v_pk_add_f16 v10, v10, v4 op_sel:[0,1] op_sel_hi:[1,0] neg_lo:[0,1] neg_hi:[0,1]
	v_sub_f16_e32 v11, v11, v4
	v_sub_f16_sdwa v4, v8, v4 dst_sel:DWORD dst_unused:UNUSED_PAD src0_sel:DWORD src1_sel:WORD_1
	v_bfi_b32 v10, 0xffff, v18, v10
	ds_write_b16 v9, v11 offset:7142
	ds_write_b32 v0, v10 offset:476
	ds_write_b16 v9, v4 offset:7140
	ds_read_b32 v4, v0 offset:952
	ds_read_b32 v8, v9 offset:6664
	s_waitcnt lgkmcnt(0)
	v_pk_add_f16 v10, v4, v8 neg_lo:[0,1] neg_hi:[0,1]
	v_pk_add_f16 v4, v4, v8
	v_bfi_b32 v8, 0xffff, v10, v4
	v_bfi_b32 v4, 0xffff, v4, v10
	v_pk_mul_f16 v8, v8, 0.5 op_sel_hi:[1,0]
	v_pk_mul_f16 v11, v4, 0.5 op_sel_hi:[1,0]
	s_waitcnt vmcnt(5)
	v_pk_mul_f16 v10, v13, v8 op_sel:[1,0]
	v_pk_mul_f16 v8, v13, v8 op_sel_hi:[0,1]
	v_pk_fma_f16 v4, v4, 0.5, v10 op_sel_hi:[1,0,1]
	v_sub_f16_sdwa v13, v10, v11 dst_sel:DWORD dst_unused:UNUSED_PAD src0_sel:WORD_1 src1_sel:WORD_1
	v_sub_f16_e32 v10, v11, v10
	v_pk_add_f16 v17, v4, v8 op_sel:[0,1] op_sel_hi:[1,0]
	v_pk_add_f16 v4, v4, v8 op_sel:[0,1] op_sel_hi:[1,0] neg_lo:[0,1] neg_hi:[0,1]
	v_sub_f16_e32 v11, v13, v8
	v_sub_f16_sdwa v8, v10, v8 dst_sel:DWORD dst_unused:UNUSED_PAD src0_sel:DWORD src1_sel:WORD_1
	v_bfi_b32 v4, 0xffff, v17, v4
	ds_write_b16 v9, v11 offset:6666
	ds_write_b32 v0, v4 offset:952
	ds_write_b16 v9, v8 offset:6664
	ds_read_b32 v4, v0 offset:1428
	ds_read_b32 v8, v9 offset:6188
	;; [unrolled: 23-line block ×6, first 2 shown]
	s_waitcnt lgkmcnt(0)
	v_pk_add_f16 v10, v4, v8 neg_lo:[0,1] neg_hi:[0,1]
	v_pk_add_f16 v4, v4, v8
	v_bfi_b32 v8, 0xffff, v10, v4
	v_bfi_b32 v4, 0xffff, v4, v10
	v_pk_mul_f16 v8, v8, 0.5 op_sel_hi:[1,0]
	v_pk_mul_f16 v4, v4, 0.5 op_sel_hi:[1,0]
	s_waitcnt vmcnt(0)
	v_pk_mul_f16 v11, v7, v8 op_sel_hi:[0,1]
	v_pk_fma_f16 v10, v7, v8, v4 op_sel:[1,0,0]
	v_pk_fma_f16 v12, v7, v8, v4 op_sel:[1,0,0] neg_lo:[1,0,0] neg_hi:[1,0,0]
	v_pk_fma_f16 v4, v7, v8, v4 op_sel:[1,0,0] neg_lo:[0,0,1] neg_hi:[0,0,1]
	v_pk_add_f16 v7, v10, v11 op_sel:[0,1] op_sel_hi:[1,0]
	v_pk_add_f16 v8, v10, v11 op_sel:[0,1] op_sel_hi:[1,0] neg_lo:[0,1] neg_hi:[0,1]
	v_pk_add_f16 v10, v12, v11 op_sel:[0,1] op_sel_hi:[1,0] neg_lo:[0,1] neg_hi:[0,1]
	;; [unrolled: 1-line block ×3, first 2 shown]
	v_bfi_b32 v7, 0xffff, v7, v8
	v_bfi_b32 v4, 0xffff, v10, v4
	ds_write_b32 v0, v7 offset:3332
	ds_write_b32 v9, v4 offset:4284
	s_waitcnt lgkmcnt(0)
	s_barrier
	buffer_gl0_inv
	s_and_saveexec_b32 s0, vcc_lo
	s_cbranch_execz .LBB0_26
; %bb.24:
	v_mul_lo_u32 v0, s3, v5
	v_mul_lo_u32 v7, s2, v6
	v_mad_u64_u32 v[5:6], null, s2, v5, 0
	v_mov_b32_e32 v4, 0
	v_lshl_add_u32 v21, v3, 2, 0
	v_add_nc_u32_e32 v9, 0xee, v3
	v_add_nc_u32_e32 v17, 0x3b8, v3
	v_mov_b32_e32 v8, v4
	v_add3_u32 v6, v6, v7, v0
	v_lshlrev_b64 v[0:1], 2, v[1:2]
	v_add_nc_u32_e32 v7, 0x77, v3
	v_add_nc_u32_e32 v2, 0x200, v21
	ds_read2_b32 v[11:12], v21 offset1:119
	v_lshlrev_b64 v[5:6], 2, v[5:6]
	v_lshlrev_b64 v[13:14], 2, v[3:4]
	v_mov_b32_e32 v10, v4
	v_mov_b32_e32 v18, v4
	v_add_co_u32 v15, vcc_lo, s10, v5
	v_add_co_ci_u32_e32 v16, vcc_lo, s11, v6, vcc_lo
	v_lshlrev_b64 v[5:6], 2, v[7:8]
	ds_read2_b32 v[7:8], v2 offset0:110 offset1:229
	v_add_co_u32 v0, vcc_lo, v15, v0
	v_add_co_ci_u32_e32 v1, vcc_lo, v16, v1, vcc_lo
	v_lshlrev_b64 v[9:10], 2, v[9:10]
	v_add_co_u32 v13, vcc_lo, v0, v13
	v_add_nc_u32_e32 v15, 0x165, v3
	v_mov_b32_e32 v16, v4
	v_add_co_ci_u32_e32 v14, vcc_lo, v1, v14, vcc_lo
	v_add_co_u32 v5, vcc_lo, v0, v5
	v_add_co_ci_u32_e32 v6, vcc_lo, v1, v6, vcc_lo
	v_lshlrev_b64 v[15:16], 2, v[15:16]
	v_add_co_u32 v9, vcc_lo, v0, v9
	v_add_co_ci_u32_e32 v10, vcc_lo, v1, v10, vcc_lo
	s_waitcnt lgkmcnt(1)
	global_store_dword v[13:14], v11, off
	global_store_dword v[5:6], v12, off
	s_waitcnt lgkmcnt(0)
	global_store_dword v[9:10], v7, off
	v_add_co_u32 v5, vcc_lo, v0, v15
	v_add_co_ci_u32_e32 v6, vcc_lo, v1, v16, vcc_lo
	v_add_nc_u32_e32 v2, 0x600, v21
	v_add_nc_u32_e32 v9, 0x1dc, v3
	v_mov_b32_e32 v10, v4
	global_store_dword v[5:6], v8, off
	v_add_nc_u32_e32 v11, 0x253, v3
	ds_read2_b32 v[5:6], v2 offset0:92 offset1:211
	v_add_nc_u32_e32 v2, 0xa00, v21
	v_mov_b32_e32 v12, v4
	v_lshlrev_b64 v[7:8], 2, v[9:10]
	v_add_nc_u32_e32 v15, 0x341, v3
	v_mov_b32_e32 v16, v4
	ds_read2_b32 v[13:14], v2 offset0:74 offset1:193
	v_lshlrev_b64 v[9:10], 2, v[11:12]
	v_add_nc_u32_e32 v11, 0x2ca, v3
	v_add_nc_u32_e32 v2, 0xe00, v21
	v_add_co_u32 v7, vcc_lo, v0, v7
	v_add_co_ci_u32_e32 v8, vcc_lo, v1, v8, vcc_lo
	v_lshlrev_b64 v[11:12], 2, v[11:12]
	v_add_co_u32 v9, vcc_lo, v0, v9
	ds_read2_b32 v[19:20], v2 offset0:56 offset1:175
	v_add_co_ci_u32_e32 v10, vcc_lo, v1, v10, vcc_lo
	v_add_co_u32 v11, vcc_lo, v0, v11
	v_add_co_ci_u32_e32 v12, vcc_lo, v1, v12, vcc_lo
	v_lshlrev_b64 v[15:16], 2, v[15:16]
	s_waitcnt lgkmcnt(2)
	global_store_dword v[7:8], v5, off
	global_store_dword v[9:10], v6, off
	s_waitcnt lgkmcnt(1)
	global_store_dword v[11:12], v13, off
	v_lshlrev_b64 v[5:6], 2, v[17:18]
	v_add_nc_u32_e32 v2, 0x1200, v21
	v_add_nc_u32_e32 v9, 0x42f, v3
	v_mov_b32_e32 v10, v4
	v_add_co_u32 v7, vcc_lo, v0, v15
	v_add_co_ci_u32_e32 v8, vcc_lo, v1, v16, vcc_lo
	v_add_co_u32 v5, vcc_lo, v0, v5
	v_add_co_ci_u32_e32 v6, vcc_lo, v1, v6, vcc_lo
	v_add_nc_u32_e32 v11, 0x4a6, v3
	v_mov_b32_e32 v12, v4
	global_store_dword v[7:8], v14, off
	s_waitcnt lgkmcnt(0)
	global_store_dword v[5:6], v19, off
	ds_read2_b32 v[7:8], v2 offset0:38 offset1:157
	v_lshlrev_b64 v[5:6], 2, v[9:10]
	v_add_nc_u32_e32 v13, 0x594, v3
	v_lshlrev_b64 v[9:10], 2, v[11:12]
	v_add_nc_u32_e32 v11, 0x51d, v3
	v_add_nc_u32_e32 v2, 0x1600, v21
	v_mov_b32_e32 v14, v4
	v_add_co_u32 v5, vcc_lo, v0, v5
	v_lshlrev_b64 v[11:12], 2, v[11:12]
	v_add_co_ci_u32_e32 v6, vcc_lo, v1, v6, vcc_lo
	v_add_co_u32 v9, vcc_lo, v0, v9
	v_add_co_ci_u32_e32 v10, vcc_lo, v1, v10, vcc_lo
	v_add_co_u32 v11, vcc_lo, v0, v11
	v_add_co_ci_u32_e32 v12, vcc_lo, v1, v12, vcc_lo
	global_store_dword v[5:6], v20, off
	s_waitcnt lgkmcnt(0)
	global_store_dword v[9:10], v7, off
	global_store_dword v[11:12], v8, off
	v_add_nc_u32_e32 v9, 0x60b, v3
	v_mov_b32_e32 v10, v4
	ds_read2_b32 v[5:6], v2 offset0:20 offset1:139
	v_lshlrev_b64 v[7:8], 2, v[13:14]
	v_add_nc_u32_e32 v2, 0x1800, v21
	v_add_nc_u32_e32 v11, 0x682, v3
	v_mov_b32_e32 v12, v4
	v_lshlrev_b64 v[9:10], 2, v[9:10]
	v_add_nc_u32_e32 v15, 0x6f9, v3
	v_mov_b32_e32 v16, v4
	ds_read2_b32 v[13:14], v2 offset0:130 offset1:249
	v_add_co_u32 v7, vcc_lo, v0, v7
	v_lshlrev_b64 v[11:12], 2, v[11:12]
	v_add_co_ci_u32_e32 v8, vcc_lo, v1, v8, vcc_lo
	v_add_co_u32 v9, vcc_lo, v0, v9
	v_lshlrev_b64 v[15:16], 2, v[15:16]
	v_add_co_ci_u32_e32 v10, vcc_lo, v1, v10, vcc_lo
	v_add_co_u32 v11, vcc_lo, v0, v11
	v_add_co_ci_u32_e32 v12, vcc_lo, v1, v12, vcc_lo
	v_add_co_u32 v15, vcc_lo, v0, v15
	v_add_co_ci_u32_e32 v16, vcc_lo, v1, v16, vcc_lo
	v_cmp_eq_u32_e32 vcc_lo, 0x76, v3
	s_waitcnt lgkmcnt(1)
	global_store_dword v[7:8], v5, off
	global_store_dword v[9:10], v6, off
	s_waitcnt lgkmcnt(0)
	global_store_dword v[11:12], v13, off
	global_store_dword v[15:16], v14, off
	s_and_b32 exec_lo, exec_lo, vcc_lo
	s_cbranch_execz .LBB0_26
; %bb.25:
	ds_read_b32 v2, v4 offset:7616
	v_add_co_u32 v0, vcc_lo, 0x1800, v0
	v_add_co_ci_u32_e32 v1, vcc_lo, 0, v1, vcc_lo
	s_waitcnt lgkmcnt(0)
	global_store_dword v[0:1], v2, off offset:1472
.LBB0_26:
	s_endpgm
	.section	.rodata,"a",@progbits
	.p2align	6, 0x0
	.amdhsa_kernel fft_rtc_back_len1904_factors_17_2_2_7_4_wgs_119_tpt_119_halfLds_half_op_CI_CI_unitstride_sbrr_R2C_dirReg
		.amdhsa_group_segment_fixed_size 0
		.amdhsa_private_segment_fixed_size 0
		.amdhsa_kernarg_size 104
		.amdhsa_user_sgpr_count 6
		.amdhsa_user_sgpr_private_segment_buffer 1
		.amdhsa_user_sgpr_dispatch_ptr 0
		.amdhsa_user_sgpr_queue_ptr 0
		.amdhsa_user_sgpr_kernarg_segment_ptr 1
		.amdhsa_user_sgpr_dispatch_id 0
		.amdhsa_user_sgpr_flat_scratch_init 0
		.amdhsa_user_sgpr_private_segment_size 0
		.amdhsa_wavefront_size32 1
		.amdhsa_uses_dynamic_stack 0
		.amdhsa_system_sgpr_private_segment_wavefront_offset 0
		.amdhsa_system_sgpr_workgroup_id_x 1
		.amdhsa_system_sgpr_workgroup_id_y 0
		.amdhsa_system_sgpr_workgroup_id_z 0
		.amdhsa_system_sgpr_workgroup_info 0
		.amdhsa_system_vgpr_workitem_id 0
		.amdhsa_next_free_vgpr 174
		.amdhsa_next_free_sgpr 27
		.amdhsa_reserve_vcc 1
		.amdhsa_reserve_flat_scratch 0
		.amdhsa_float_round_mode_32 0
		.amdhsa_float_round_mode_16_64 0
		.amdhsa_float_denorm_mode_32 3
		.amdhsa_float_denorm_mode_16_64 3
		.amdhsa_dx10_clamp 1
		.amdhsa_ieee_mode 1
		.amdhsa_fp16_overflow 0
		.amdhsa_workgroup_processor_mode 1
		.amdhsa_memory_ordered 1
		.amdhsa_forward_progress 0
		.amdhsa_shared_vgpr_count 0
		.amdhsa_exception_fp_ieee_invalid_op 0
		.amdhsa_exception_fp_denorm_src 0
		.amdhsa_exception_fp_ieee_div_zero 0
		.amdhsa_exception_fp_ieee_overflow 0
		.amdhsa_exception_fp_ieee_underflow 0
		.amdhsa_exception_fp_ieee_inexact 0
		.amdhsa_exception_int_div_zero 0
	.end_amdhsa_kernel
	.text
.Lfunc_end0:
	.size	fft_rtc_back_len1904_factors_17_2_2_7_4_wgs_119_tpt_119_halfLds_half_op_CI_CI_unitstride_sbrr_R2C_dirReg, .Lfunc_end0-fft_rtc_back_len1904_factors_17_2_2_7_4_wgs_119_tpt_119_halfLds_half_op_CI_CI_unitstride_sbrr_R2C_dirReg
                                        ; -- End function
	.section	.AMDGPU.csdata,"",@progbits
; Kernel info:
; codeLenInByte = 16020
; NumSgprs: 29
; NumVgprs: 174
; ScratchSize: 0
; MemoryBound: 0
; FloatMode: 240
; IeeeMode: 1
; LDSByteSize: 0 bytes/workgroup (compile time only)
; SGPRBlocks: 3
; VGPRBlocks: 21
; NumSGPRsForWavesPerEU: 29
; NumVGPRsForWavesPerEU: 174
; Occupancy: 5
; WaveLimiterHint : 1
; COMPUTE_PGM_RSRC2:SCRATCH_EN: 0
; COMPUTE_PGM_RSRC2:USER_SGPR: 6
; COMPUTE_PGM_RSRC2:TRAP_HANDLER: 0
; COMPUTE_PGM_RSRC2:TGID_X_EN: 1
; COMPUTE_PGM_RSRC2:TGID_Y_EN: 0
; COMPUTE_PGM_RSRC2:TGID_Z_EN: 0
; COMPUTE_PGM_RSRC2:TIDIG_COMP_CNT: 0
	.text
	.p2alignl 6, 3214868480
	.fill 48, 4, 3214868480
	.type	__hip_cuid_d29d1bcea92809d9,@object ; @__hip_cuid_d29d1bcea92809d9
	.section	.bss,"aw",@nobits
	.globl	__hip_cuid_d29d1bcea92809d9
__hip_cuid_d29d1bcea92809d9:
	.byte	0                               ; 0x0
	.size	__hip_cuid_d29d1bcea92809d9, 1

	.ident	"AMD clang version 19.0.0git (https://github.com/RadeonOpenCompute/llvm-project roc-6.4.0 25133 c7fe45cf4b819c5991fe208aaa96edf142730f1d)"
	.section	".note.GNU-stack","",@progbits
	.addrsig
	.addrsig_sym __hip_cuid_d29d1bcea92809d9
	.amdgpu_metadata
---
amdhsa.kernels:
  - .args:
      - .actual_access:  read_only
        .address_space:  global
        .offset:         0
        .size:           8
        .value_kind:     global_buffer
      - .offset:         8
        .size:           8
        .value_kind:     by_value
      - .actual_access:  read_only
        .address_space:  global
        .offset:         16
        .size:           8
        .value_kind:     global_buffer
      - .actual_access:  read_only
        .address_space:  global
        .offset:         24
        .size:           8
        .value_kind:     global_buffer
      - .actual_access:  read_only
        .address_space:  global
        .offset:         32
        .size:           8
        .value_kind:     global_buffer
      - .offset:         40
        .size:           8
        .value_kind:     by_value
      - .actual_access:  read_only
        .address_space:  global
        .offset:         48
        .size:           8
        .value_kind:     global_buffer
      - .actual_access:  read_only
        .address_space:  global
        .offset:         56
        .size:           8
        .value_kind:     global_buffer
      - .offset:         64
        .size:           4
        .value_kind:     by_value
      - .actual_access:  read_only
        .address_space:  global
        .offset:         72
        .size:           8
        .value_kind:     global_buffer
      - .actual_access:  read_only
        .address_space:  global
        .offset:         80
        .size:           8
        .value_kind:     global_buffer
      - .actual_access:  read_only
        .address_space:  global
        .offset:         88
        .size:           8
        .value_kind:     global_buffer
      - .actual_access:  write_only
        .address_space:  global
        .offset:         96
        .size:           8
        .value_kind:     global_buffer
    .group_segment_fixed_size: 0
    .kernarg_segment_align: 8
    .kernarg_segment_size: 104
    .language:       OpenCL C
    .language_version:
      - 2
      - 0
    .max_flat_workgroup_size: 119
    .name:           fft_rtc_back_len1904_factors_17_2_2_7_4_wgs_119_tpt_119_halfLds_half_op_CI_CI_unitstride_sbrr_R2C_dirReg
    .private_segment_fixed_size: 0
    .sgpr_count:     29
    .sgpr_spill_count: 0
    .symbol:         fft_rtc_back_len1904_factors_17_2_2_7_4_wgs_119_tpt_119_halfLds_half_op_CI_CI_unitstride_sbrr_R2C_dirReg.kd
    .uniform_work_group_size: 1
    .uses_dynamic_stack: false
    .vgpr_count:     174
    .vgpr_spill_count: 0
    .wavefront_size: 32
    .workgroup_processor_mode: 1
amdhsa.target:   amdgcn-amd-amdhsa--gfx1030
amdhsa.version:
  - 1
  - 2
...

	.end_amdgpu_metadata
